;; amdgpu-corpus repo=vllm-project/vllm kind=compiled arch=gfx906 opt=O3
	.amdgcn_target "amdgcn-amd-amdhsa--gfx906"
	.amdhsa_code_object_version 6
	.section	.text._ZN4vllm31static_scaled_int8_quant_kernelIffEEvPKT_PaPKT0_i,"axG",@progbits,_ZN4vllm31static_scaled_int8_quant_kernelIffEEvPKT_PaPKT0_i,comdat
	.protected	_ZN4vllm31static_scaled_int8_quant_kernelIffEEvPKT_PaPKT0_i ; -- Begin function _ZN4vllm31static_scaled_int8_quant_kernelIffEEvPKT_PaPKT0_i
	.globl	_ZN4vllm31static_scaled_int8_quant_kernelIffEEvPKT_PaPKT0_i
	.p2align	8
	.type	_ZN4vllm31static_scaled_int8_quant_kernelIffEEvPKT_PaPKT0_i,@function
_ZN4vllm31static_scaled_int8_quant_kernelIffEEvPKT_PaPKT0_i: ; @_ZN4vllm31static_scaled_int8_quant_kernelIffEEvPKT_PaPKT0_i
; %bb.0:
	s_load_dword s24, s[4:5], 0x18
	s_load_dword s2, s[4:5], 0x2c
	s_load_dwordx2 s[0:1], s[4:5], 0x10
	s_load_dwordx4 s[8:11], s[4:5], 0x0
	s_waitcnt lgkmcnt(0)
	s_ashr_i32 s3, s24, 31
	s_mul_i32 s3, s3, s6
	s_load_dword s23, s[0:1], 0x0
	s_mul_hi_u32 s0, s24, s6
	s_add_i32 s15, s0, s3
	s_mul_i32 s14, s24, s6
	s_lshl_b64 s[12:13], s[14:15], 2
	s_and_b32 s22, s2, 0xffff
	s_add_u32 s2, s8, s12
	s_and_b32 s0, s2, 63
	s_mov_b32 s1, 0
	s_cmp_lg_u64 s[0:1], 0
	s_cselect_b64 s[0:1], -1, 0
	s_and_b32 s3, s24, 15
	s_cmp_lg_u32 s3, 0
	s_cselect_b64 s[4:5], -1, 0
	s_or_b64 s[4:5], s[4:5], s[0:1]
	s_mov_b64 s[0:1], -1
	s_and_b64 vcc, exec, s[4:5]
	s_cbranch_vccz .LBB0_11
; %bb.1:
	s_sub_i32 s0, 0, s2
	s_bfe_u32 s0, s0, 0x40002
	s_min_i32 s16, s0, s24
	v_cmp_gt_i32_e32 vcc, s16, v0
	s_and_saveexec_b64 s[2:3], vcc
	s_cbranch_execz .LBB0_4
; %bb.2:
	s_add_u32 s6, s10, s14
	s_addc_u32 s0, s11, s15
	s_add_u32 s1, s8, s12
	v_mov_b32_e32 v1, 0
	v_lshlrev_b32_e32 v2, 2, v0
	s_addc_u32 s4, s9, s13
	v_mov_b32_e32 v3, s4
	v_add_co_u32_e32 v2, vcc, s1, v2
	v_mov_b32_e32 v5, v1
	v_addc_co_u32_e32 v3, vcc, 0, v3, vcc
	s_lshl_b32 s7, s22, 2
	s_mov_b64 s[4:5], 0
	v_mov_b32_e32 v6, s0
	s_mov_b32 s17, 0x42fe0000
	v_mov_b32_e32 v7, 0x42fe0000
	s_mov_b32 s18, 0xc3000000
	v_mov_b32_e32 v8, 0xc3000000
	v_mov_b32_e32 v4, v0
.LBB0_3:                                ; =>This Inner Loop Header: Depth=1
	global_load_dword v1, v[2:3], off
	s_waitcnt vmcnt(0) lgkmcnt(0)
	v_div_scale_f32 v9, s[0:1], s23, s23, v1
	v_div_scale_f32 v10, vcc, v1, s23, v1
	v_rcp_f32_e32 v11, v9
	v_fma_f32 v12, -v9, v11, 1.0
	v_fmac_f32_e32 v11, v12, v11
	v_mul_f32_e32 v12, v10, v11
	v_fma_f32 v13, -v9, v12, v10
	v_fmac_f32_e32 v12, v13, v11
	v_fma_f32 v9, -v9, v12, v10
	v_div_fmas_f32 v11, v9, v11, v12
	v_add_co_u32_e32 v9, vcc, s6, v4
	v_addc_co_u32_e32 v10, vcc, v6, v5, vcc
	v_add_co_u32_e32 v4, vcc, s22, v4
	v_addc_co_u32_e32 v5, vcc, 0, v5, vcc
	;; [unrolled: 2-line block ×3, first 2 shown]
	v_cmp_le_i32_e32 vcc, s16, v4
	s_or_b64 s[4:5], vcc, s[4:5]
	v_div_fixup_f32 v1, v11, s23, v1
	v_rndne_f32_e32 v1, v1
	v_cmp_nlt_f32_e64 s[0:1], s17, v1
	v_cndmask_b32_e64 v11, v7, v1, s[0:1]
	v_cmp_ngt_f32_e64 s[0:1], s18, v1
	v_cndmask_b32_e64 v1, v8, v11, s[0:1]
	v_cvt_i32_f32_e32 v1, v1
	global_store_byte v[9:10], v1, off
	s_andn2_b64 exec, exec, s[4:5]
	s_cbranch_execnz .LBB0_3
.LBB0_4:
	s_or_b64 exec, exec, s[2:3]
	s_sub_i32 s25, s24, s16
	s_ashr_i32 s0, s25, 31
	s_lshr_b32 s0, s0, 28
	s_add_i32 s0, s25, s0
	s_ashr_i32 s26, s0, 4
	s_ashr_i32 s17, s16, 31
	v_cmp_gt_i32_e32 vcc, s26, v0
	s_and_saveexec_b64 s[18:19], vcc
	s_cbranch_execz .LBB0_7
; %bb.5:
	s_add_u32 s0, s16, s14
	s_addc_u32 s1, s17, s15
	s_add_u32 s0, s10, s0
	v_lshlrev_b32_e32 v1, 4, v0
	s_addc_u32 s1, s11, s1
	v_mov_b32_e32 v2, s1
	v_add_co_u32_e32 v1, vcc, s0, v1
	s_lshl_b32 s27, s22, 4
	s_lshl_b64 s[0:1], s[16:17], 2
	s_add_u32 s0, s8, s0
	v_addc_co_u32_e32 v2, vcc, 0, v2, vcc
	s_addc_u32 s1, s9, s1
	v_add_co_u32_e32 v13, vcc, 7, v1
	s_add_u32 s0, s0, s12
	v_addc_co_u32_e32 v14, vcc, 0, v2, vcc
	v_lshlrev_b32_e32 v1, 6, v0
	s_addc_u32 s1, s1, s13
	v_mov_b32_e32 v2, s1
	v_add_co_u32_e32 v15, vcc, s0, v1
	v_addc_co_u32_e32 v16, vcc, 0, v2, vcc
	s_lshl_b32 s28, s22, 6
	s_mov_b64 s[20:21], 0
	s_mov_b32 s29, 0x42fe0000
	v_mov_b32_e32 v17, 0x42fe0000
	s_mov_b32 s30, 0xc3000000
	v_mov_b32_e32 v18, 0xc3000000
	v_mov_b32_e32 v19, v0
.LBB0_6:                                ; =>This Inner Loop Header: Depth=1
	global_load_dwordx4 v[1:4], v[15:16], off
	global_load_dwordx4 v[5:8], v[15:16], off offset:16
	v_add_u32_e32 v19, s22, v19
	s_waitcnt vmcnt(1) lgkmcnt(0)
	v_div_scale_f32 v9, s[0:1], s23, s23, v1
	v_div_scale_f32 v11, s[0:1], s23, s23, v3
	;; [unrolled: 1-line block ×3, first 2 shown]
	s_waitcnt vmcnt(0)
	v_div_scale_f32 v20, s[0:1], s23, s23, v5
	v_div_scale_f32 v12, s[0:1], s23, s23, v4
	v_div_scale_f32 v21, vcc, v1, s23, v1
	v_rcp_f32_e32 v22, v9
	v_rcp_f32_e32 v24, v11
	;; [unrolled: 1-line block ×3, first 2 shown]
	v_fma_f32 v27, -v9, v22, 1.0
	v_rcp_f32_e32 v26, v20
	v_fmac_f32_e32 v22, v27, v22
	v_rcp_f32_e32 v25, v12
	v_fma_f32 v27, -v11, v24, 1.0
	v_fma_f32 v28, -v10, v23, 1.0
	v_fmac_f32_e32 v24, v27, v24
	v_fma_f32 v27, -v20, v26, 1.0
	v_fmac_f32_e32 v23, v28, v23
	;; [unrolled: 2-line block ×3, first 2 shown]
	v_mul_f32_e32 v27, v21, v22
	v_fmac_f32_e32 v25, v28, v25
	v_fma_f32 v28, -v9, v27, v21
	v_fmac_f32_e32 v27, v28, v22
	v_div_scale_f32 v28, s[0:1], v2, s23, v2
	v_fma_f32 v9, -v9, v27, v21
	v_div_scale_f32 v21, s[2:3], v3, s23, v3
	v_div_fmas_f32 v22, v9, v22, v27
	s_mov_b64 vcc, s[0:1]
	v_mul_f32_e32 v9, v28, v23
	v_fma_f32 v27, -v10, v9, v28
	v_fmac_f32_e32 v9, v27, v23
	v_div_scale_f32 v27, s[4:5], v4, s23, v4
	v_fma_f32 v10, -v10, v9, v28
	v_div_fmas_f32 v23, v10, v23, v9
	v_mul_f32_e32 v9, v21, v24
	v_fma_f32 v10, -v11, v9, v21
	v_div_scale_f32 v28, s[6:7], v5, s23, v5
	v_fmac_f32_e32 v9, v10, v24
	v_fma_f32 v11, -v11, v9, v21
	s_mov_b64 vcc, s[2:3]
	v_div_scale_f32 v10, s[0:1], s23, s23, v6
	v_div_fmas_f32 v29, v11, v24, v9
	v_div_scale_f32 v21, s[0:1], s23, s23, v7
	v_mul_f32_e32 v9, v27, v25
	v_fma_f32 v11, -v12, v9, v27
	v_fmac_f32_e32 v9, v11, v25
	v_div_scale_f32 v11, s[0:1], s23, s23, v8
	v_fma_f32 v12, -v12, v9, v27
	v_div_scale_f32 v27, s[0:1], v6, s23, v6
	s_mov_b64 vcc, s[4:5]
	v_div_fmas_f32 v25, v12, v25, v9
	v_mul_f32_e32 v9, v28, v26
	v_fma_f32 v12, -v20, v9, v28
	v_fmac_f32_e32 v9, v12, v26
	v_rcp_f32_e32 v12, v10
	v_fma_f32 v20, -v20, v9, v28
	v_rcp_f32_e32 v28, v21
	s_mov_b64 vcc, s[6:7]
	v_div_fmas_f32 v24, v20, v26, v9
	v_fma_f32 v20, -v10, v12, 1.0
	v_rcp_f32_e32 v9, v11
	v_fmac_f32_e32 v12, v20, v12
	v_fma_f32 v20, -v21, v28, 1.0
	v_fmac_f32_e32 v28, v20, v28
	v_fma_f32 v20, -v11, v9, 1.0
	v_fmac_f32_e32 v9, v20, v9
	v_mul_f32_e32 v20, v27, v12
	v_fma_f32 v26, -v10, v20, v27
	v_fmac_f32_e32 v20, v26, v12
	v_div_scale_f32 v26, s[2:3], v7, s23, v7
	v_fma_f32 v10, -v10, v20, v27
	s_mov_b64 vcc, s[0:1]
	v_div_fmas_f32 v27, v10, v12, v20
	s_mov_b64 vcc, s[2:3]
	v_div_fixup_f32 v22, v22, s23, v1
	v_div_fixup_f32 v23, v23, s23, v2
	v_rndne_f32_e32 v22, v22
	v_rndne_f32_e32 v23, v23
	v_mul_f32_e32 v10, v26, v28
	v_fma_f32 v12, -v21, v10, v26
	v_fmac_f32_e32 v10, v12, v28
	v_div_scale_f32 v12, s[0:1], v8, s23, v8
	v_fma_f32 v21, -v21, v10, v26
	v_div_fmas_f32 v26, v21, v28, v10
	s_mov_b64 vcc, s[0:1]
	v_div_fixup_f32 v21, v29, s23, v3
	v_rndne_f32_e32 v21, v21
	v_mul_f32_e32 v20, v12, v9
	v_fma_f32 v30, -v11, v20, v12
	v_fmac_f32_e32 v20, v30, v9
	v_fma_f32 v11, -v11, v20, v12
	v_div_fmas_f32 v28, v11, v9, v20
	global_load_dwordx4 v[9:12], v[15:16], off offset:32
	v_div_fixup_f32 v20, v25, s23, v4
	global_load_dwordx4 v[1:4], v[15:16], off offset:48
	v_div_fixup_f32 v25, v24, s23, v5
	v_div_fixup_f32 v24, v27, s23, v6
	;; [unrolled: 1-line block ×3, first 2 shown]
	v_rndne_f32_e32 v20, v20
	v_rndne_f32_e32 v25, v25
	;; [unrolled: 1-line block ×4, first 2 shown]
	v_div_fixup_f32 v5, v28, s23, v8
	v_rndne_f32_e32 v5, v5
	s_waitcnt vmcnt(1)
	v_div_scale_f32 v29, s[0:1], s23, s23, v9
	v_div_scale_f32 v7, vcc, v9, s23, v9
	v_rcp_f32_e32 v8, v29
	v_fma_f32 v26, -v29, v8, 1.0
	v_fmac_f32_e32 v8, v26, v8
	v_mul_f32_e32 v26, v7, v8
	v_fma_f32 v27, -v29, v26, v7
	v_fmac_f32_e32 v26, v27, v8
	v_div_scale_f32 v27, s[0:1], s23, s23, v10
	v_div_scale_f32 v28, s[0:1], v10, s23, v10
	v_fma_f32 v7, -v29, v26, v7
	v_div_fmas_f32 v7, v7, v8, v26
	s_mov_b64 vcc, s[0:1]
	v_rcp_f32_e32 v8, v27
	v_fma_f32 v26, -v27, v8, 1.0
	v_fmac_f32_e32 v8, v26, v8
	v_mul_f32_e32 v26, v28, v8
	v_fma_f32 v29, -v27, v26, v28
	v_fmac_f32_e32 v26, v29, v8
	v_fma_f32 v27, -v27, v26, v28
	v_div_scale_f32 v28, s[2:3], s23, s23, v11
	v_div_fmas_f32 v8, v27, v8, v26
	v_rcp_f32_e32 v26, v28
	v_fma_f32 v27, -v28, v26, 1.0
	v_fmac_f32_e32 v26, v27, v26
	v_div_scale_f32 v27, vcc, v11, s23, v11
	v_mul_f32_e32 v29, v27, v26
	v_fma_f32 v30, -v28, v29, v27
	v_fmac_f32_e32 v29, v30, v26
	v_fma_f32 v27, -v28, v29, v27
	v_div_fmas_f32 v27, v27, v26, v29
	v_div_scale_f32 v26, s[0:1], s23, s23, v12
	v_rcp_f32_e32 v28, v26
	v_fma_f32 v29, -v26, v28, 1.0
	v_fmac_f32_e32 v28, v29, v28
	v_div_scale_f32 v29, vcc, v12, s23, v12
	v_mul_f32_e32 v30, v29, v28
	v_fma_f32 v31, -v26, v30, v29
	v_fmac_f32_e32 v30, v31, v28
	v_fma_f32 v26, -v26, v30, v29
	s_waitcnt vmcnt(0)
	v_div_scale_f32 v29, s[0:1], s23, s23, v1
	v_div_fmas_f32 v28, v26, v28, v30
	v_div_fixup_f32 v26, v7, s23, v9
	v_div_fixup_f32 v9, v8, s23, v10
	v_div_scale_f32 v10, vcc, v1, s23, v1
	v_div_fixup_f32 v8, v27, s23, v11
	v_rndne_f32_e32 v9, v9
	v_rndne_f32_e32 v8, v8
	v_rcp_f32_e32 v11, v29
	v_div_fixup_f32 v7, v28, s23, v12
	v_rndne_f32_e32 v7, v7
	v_fma_f32 v12, -v29, v11, 1.0
	v_fmac_f32_e32 v11, v12, v11
	v_mul_f32_e32 v12, v10, v11
	v_fma_f32 v27, -v29, v12, v10
	v_fmac_f32_e32 v12, v27, v11
	v_div_scale_f32 v27, s[0:1], s23, s23, v2
	v_div_scale_f32 v28, s[0:1], v2, s23, v2
	v_fma_f32 v10, -v29, v12, v10
	v_div_fmas_f32 v10, v10, v11, v12
	s_mov_b64 vcc, s[0:1]
	v_rcp_f32_e32 v11, v27
	v_fma_f32 v12, -v27, v11, 1.0
	v_fmac_f32_e32 v11, v12, v11
	v_mul_f32_e32 v12, v28, v11
	v_fma_f32 v29, -v27, v12, v28
	v_fmac_f32_e32 v12, v29, v11
	v_fma_f32 v27, -v27, v12, v28
	v_div_scale_f32 v28, s[2:3], s23, s23, v3
	v_div_fmas_f32 v11, v27, v11, v12
	v_div_fixup_f32 v10, v10, s23, v1
	v_rndne_f32_e32 v10, v10
	v_rcp_f32_e32 v12, v28
	v_div_fixup_f32 v2, v11, s23, v2
	v_rndne_f32_e32 v2, v2
	v_fma_f32 v27, -v28, v12, 1.0
	v_fmac_f32_e32 v12, v27, v12
	v_div_scale_f32 v27, vcc, v3, s23, v3
	v_mul_f32_e32 v29, v27, v12
	v_fma_f32 v30, -v28, v29, v27
	v_fmac_f32_e32 v29, v30, v12
	v_fma_f32 v27, -v28, v29, v27
	v_div_fmas_f32 v12, v27, v12, v29
	v_div_scale_f32 v27, s[0:1], s23, s23, v4
	v_cmp_nlt_f32_e64 s[0:1], s29, v23
	v_div_fixup_f32 v3, v12, s23, v3
	v_rcp_f32_e32 v28, v27
	v_rndne_f32_e32 v3, v3
	v_fma_f32 v29, -v27, v28, 1.0
	v_fmac_f32_e32 v28, v29, v28
	v_div_scale_f32 v29, vcc, v4, s23, v4
	v_mul_f32_e32 v30, v29, v28
	v_fma_f32 v31, -v27, v30, v29
	v_fmac_f32_e32 v30, v31, v28
	v_fma_f32 v27, -v27, v30, v29
	v_div_fmas_f32 v27, v27, v28, v30
	v_add_co_u32_e32 v15, vcc, s28, v15
	v_addc_co_u32_e32 v16, vcc, 0, v16, vcc
	v_cmp_le_i32_e32 vcc, s26, v19
	s_or_b64 s[20:21], vcc, s[20:21]
	v_cmp_nlt_f32_e32 vcc, s29, v22
	v_cndmask_b32_e32 v28, v17, v22, vcc
	v_cmp_ngt_f32_e32 vcc, s30, v22
	v_cndmask_b32_e64 v22, v17, v23, s[0:1]
	v_cmp_ngt_f32_e64 s[0:1], s30, v23
	v_cndmask_b32_e32 v23, v18, v28, vcc
	v_cndmask_b32_e64 v22, v18, v22, s[0:1]
	v_cmp_nlt_f32_e32 vcc, s29, v21
	v_cmp_nlt_f32_e64 s[0:1], s29, v20
	v_cvt_i32_f32_e32 v23, v23
	v_cndmask_b32_e32 v28, v17, v21, vcc
	v_cmp_ngt_f32_e32 vcc, s30, v21
	v_cvt_i32_f32_sdwa v21, v22 dst_sel:BYTE_1 dst_unused:UNUSED_PAD src0_sel:DWORD
	v_cndmask_b32_e64 v22, v17, v20, s[0:1]
	v_cmp_ngt_f32_e64 s[0:1], s30, v20
	v_cndmask_b32_e32 v20, v18, v28, vcc
	v_cndmask_b32_e64 v22, v18, v22, s[0:1]
	v_cmp_nlt_f32_e32 vcc, s29, v25
	v_cmp_nlt_f32_e64 s[0:1], s29, v24
	v_cndmask_b32_e32 v28, v17, v25, vcc
	v_cmp_ngt_f32_e32 vcc, s30, v25
	v_cndmask_b32_e64 v25, v17, v24, s[0:1]
	v_cmp_ngt_f32_e64 s[0:1], s30, v24
	v_cvt_i32_f32_e32 v20, v20
	v_cvt_i32_f32_sdwa v22, v22 dst_sel:BYTE_1 dst_unused:UNUSED_PAD src0_sel:DWORD
	v_cndmask_b32_e32 v24, v18, v28, vcc
	v_cndmask_b32_e64 v25, v18, v25, s[0:1]
	v_cmp_nlt_f32_e32 vcc, s29, v6
	v_cndmask_b32_e32 v28, v17, v6, vcc
	v_cmp_ngt_f32_e32 vcc, s30, v6
	v_or_b32_sdwa v6, v23, v21 dst_sel:DWORD dst_unused:UNUSED_PAD src0_sel:BYTE_0 src1_sel:DWORD
	v_cvt_i32_f32_sdwa v21, v25 dst_sel:BYTE_1 dst_unused:UNUSED_PAD src0_sel:DWORD
	v_cmp_nlt_f32_e64 s[0:1], s29, v5
	v_rndne_f32_e32 v25, v26
	v_cndmask_b32_e64 v23, v17, v5, s[0:1]
	v_cmp_ngt_f32_e64 s[0:1], s30, v5
	v_cndmask_b32_e32 v5, v18, v28, vcc
	v_cmp_nlt_f32_e32 vcc, s29, v25
	v_cndmask_b32_e64 v23, v18, v23, s[0:1]
	v_cndmask_b32_e32 v26, v17, v25, vcc
	v_cmp_ngt_f32_e32 vcc, s30, v25
	v_cmp_nlt_f32_e64 s[0:1], s29, v9
	v_cvt_i32_f32_e32 v24, v24
	v_cvt_i32_f32_e32 v5, v5
	v_or_b32_sdwa v20, v20, v22 dst_sel:WORD_1 dst_unused:UNUSED_PAD src0_sel:BYTE_0 src1_sel:DWORD
	v_cvt_i32_f32_sdwa v22, v23 dst_sel:BYTE_1 dst_unused:UNUSED_PAD src0_sel:DWORD
	v_cndmask_b32_e64 v23, v17, v9, s[0:1]
	v_cmp_ngt_f32_e64 s[0:1], s30, v9
	v_cndmask_b32_e32 v9, v18, v26, vcc
	v_cmp_nlt_f32_e32 vcc, s29, v8
	v_or_b32_sdwa v1, v6, v20 dst_sel:DWORD dst_unused:UNUSED_PAD src0_sel:WORD_0 src1_sel:DWORD
	v_cvt_i32_f32_e32 v6, v9
	v_cndmask_b32_e64 v9, v18, v23, s[0:1]
	v_cndmask_b32_e32 v20, v17, v8, vcc
	v_cmp_ngt_f32_e32 vcc, s30, v8
	v_cmp_nlt_f32_e64 s[0:1], s29, v7
	v_cndmask_b32_e64 v11, v17, v7, s[0:1]
	v_cmp_ngt_f32_e64 s[0:1], s30, v7
	v_cndmask_b32_e32 v7, v18, v20, vcc
	v_cmp_nlt_f32_e32 vcc, s29, v10
	v_cvt_i32_f32_sdwa v9, v9 dst_sel:BYTE_1 dst_unused:UNUSED_PAD src0_sel:DWORD
	v_cndmask_b32_e32 v12, v17, v10, vcc
	v_cmp_ngt_f32_e32 vcc, s30, v10
	v_or_b32_sdwa v8, v24, v21 dst_sel:DWORD dst_unused:UNUSED_PAD src0_sel:BYTE_0 src1_sel:DWORD
	v_cndmask_b32_e64 v11, v18, v11, s[0:1]
	v_div_fixup_f32 v4, v27, s23, v4
	v_or_b32_sdwa v5, v5, v22 dst_sel:WORD_1 dst_unused:UNUSED_PAD src0_sel:BYTE_0 src1_sel:DWORD
	v_cmp_nlt_f32_e64 s[0:1], s29, v2
	v_cndmask_b32_e32 v12, v18, v12, vcc
	v_cmp_nlt_f32_e32 vcc, s29, v3
	v_cvt_i32_f32_sdwa v10, v11 dst_sel:BYTE_1 dst_unused:UNUSED_PAD src0_sel:DWORD
	v_cndmask_b32_e64 v11, v17, v2, s[0:1]
	v_cmp_ngt_f32_e64 s[0:1], s30, v2
	v_or_b32_sdwa v2, v8, v5 dst_sel:DWORD dst_unused:UNUSED_PAD src0_sel:WORD_0 src1_sel:DWORD
	v_cndmask_b32_e32 v5, v17, v3, vcc
	v_cmp_ngt_f32_e32 vcc, s30, v3
	v_rndne_f32_e32 v3, v4
	v_cndmask_b32_e64 v8, v18, v11, s[0:1]
	v_cmp_nlt_f32_e64 s[0:1], s29, v3
	v_or_b32_sdwa v6, v6, v9 dst_sel:DWORD dst_unused:UNUSED_PAD src0_sel:BYTE_0 src1_sel:DWORD
	v_cndmask_b32_e64 v9, v17, v3, s[0:1]
	v_cmp_ngt_f32_e64 s[0:1], s30, v3
	v_cndmask_b32_e32 v3, v18, v5, vcc
	v_cvt_i32_f32_e32 v5, v3
	v_cndmask_b32_e64 v3, v18, v9, s[0:1]
	v_cvt_i32_f32_e32 v7, v7
	v_cvt_i32_f32_e32 v4, v12
	v_cvt_i32_f32_sdwa v8, v8 dst_sel:BYTE_1 dst_unused:UNUSED_PAD src0_sel:DWORD
	v_cvt_i32_f32_sdwa v9, v3 dst_sel:BYTE_1 dst_unused:UNUSED_PAD src0_sel:DWORD
	v_or_b32_sdwa v3, v7, v10 dst_sel:WORD_1 dst_unused:UNUSED_PAD src0_sel:BYTE_0 src1_sel:DWORD
	v_or_b32_sdwa v3, v6, v3 dst_sel:DWORD dst_unused:UNUSED_PAD src0_sel:WORD_0 src1_sel:DWORD
	v_or_b32_sdwa v4, v4, v8 dst_sel:DWORD dst_unused:UNUSED_PAD src0_sel:BYTE_0 src1_sel:DWORD
	v_or_b32_sdwa v5, v5, v9 dst_sel:WORD_1 dst_unused:UNUSED_PAD src0_sel:BYTE_0 src1_sel:DWORD
	v_or_b32_sdwa v4, v4, v5 dst_sel:DWORD dst_unused:UNUSED_PAD src0_sel:WORD_0 src1_sel:DWORD
	global_store_dwordx4 v[13:14], v[1:4], off offset:-7
	v_add_co_u32_e32 v13, vcc, s27, v13
	v_addc_co_u32_e32 v14, vcc, 0, v14, vcc
	s_andn2_b64 exec, exec, s[20:21]
	s_cbranch_execnz .LBB0_6
.LBB0_7:
	s_or_b64 exec, exec, s[18:19]
	v_lshl_add_u32 v1, s26, 4, v0
	v_cmp_gt_i32_e32 vcc, s25, v1
	s_and_saveexec_b64 s[2:3], vcc
	s_cbranch_execz .LBB0_10
; %bb.8:
	s_lshl_b64 s[0:1], s[16:17], 2
	s_add_u32 s0, s12, s0
	s_addc_u32 s1, s13, s1
	v_ashrrev_i32_e32 v2, 31, v1
	v_lshlrev_b64 v[3:4], 2, v[1:2]
	s_add_u32 s0, s8, s0
	s_addc_u32 s1, s9, s1
	s_lshl_b32 s18, s22, 2
	v_add_co_u32_e32 v3, vcc, s0, v3
	s_add_u32 s0, s16, s14
	v_mov_b32_e32 v5, s1
	s_addc_u32 s1, s17, s15
	s_add_u32 s0, s10, s0
	v_addc_co_u32_e32 v4, vcc, v5, v4, vcc
	s_addc_u32 s1, s11, s1
	v_mov_b32_e32 v6, s1
	v_add_co_u32_e32 v5, vcc, s0, v1
	v_addc_co_u32_e32 v2, vcc, v6, v2, vcc
	s_mov_b64 s[4:5], 0
	s_mov_b32 s16, 0x42fe0000
	v_mov_b32_e32 v6, 0x42fe0000
	s_mov_b32 s17, 0xc3000000
	v_mov_b32_e32 v7, 0xc3000000
	s_mov_b64 s[6:7], 0
.LBB0_9:                                ; =>This Inner Loop Header: Depth=1
	global_load_dword v10, v[3:4], off
	s_waitcnt vmcnt(0) lgkmcnt(0)
	v_div_scale_f32 v8, s[0:1], s23, s23, v10
	v_div_scale_f32 v9, vcc, v10, s23, v10
	v_add_co_u32_e64 v3, s[0:1], s18, v3
	v_addc_co_u32_e64 v4, s[0:1], 0, v4, s[0:1]
	v_rcp_f32_e32 v11, v8
	v_fma_f32 v12, -v8, v11, 1.0
	v_fmac_f32_e32 v11, v12, v11
	v_mul_f32_e32 v12, v9, v11
	v_fma_f32 v13, -v8, v12, v9
	v_fmac_f32_e32 v12, v13, v11
	v_fma_f32 v8, -v8, v12, v9
	v_div_fmas_f32 v11, v8, v11, v12
	v_mov_b32_e32 v9, s7
	v_add_co_u32_e32 v8, vcc, s6, v5
	v_addc_co_u32_e32 v9, vcc, v2, v9, vcc
	s_add_u32 s6, s6, s22
	s_addc_u32 s7, s7, 0
	v_div_fixup_f32 v10, v11, s23, v10
	v_rndne_f32_e32 v10, v10
	v_cmp_nlt_f32_e32 vcc, s16, v10
	v_cndmask_b32_e32 v11, v6, v10, vcc
	v_cmp_ngt_f32_e32 vcc, s17, v10
	v_cndmask_b32_e32 v10, v7, v11, vcc
	v_cvt_i32_f32_e32 v10, v10
	v_add_u32_e32 v11, s6, v1
	v_cmp_le_i32_e32 vcc, s25, v11
	s_or_b64 s[4:5], vcc, s[4:5]
	global_store_byte v[8:9], v10, off
	s_andn2_b64 exec, exec, s[4:5]
	s_cbranch_execnz .LBB0_9
.LBB0_10:
	s_or_b64 exec, exec, s[2:3]
	s_mov_b64 s[0:1], 0
.LBB0_11:
	s_and_b64 vcc, exec, s[0:1]
	s_cbranch_vccz .LBB0_15
; %bb.12:
	s_ashr_i32 s18, s24, 4
	v_cmp_gt_i32_e32 vcc, s18, v0
	s_and_saveexec_b64 s[0:1], vcc
	s_cbranch_execz .LBB0_15
; %bb.13:
	s_add_u32 s0, s10, s14
	v_lshlrev_b32_e32 v1, 4, v0
	s_addc_u32 s1, s11, s15
	v_mov_b32_e32 v2, s1
	v_add_co_u32_e32 v1, vcc, s0, v1
	v_addc_co_u32_e32 v2, vcc, 0, v2, vcc
	s_lshl_b32 s19, s22, 4
	v_add_co_u32_e32 v9, vcc, 7, v1
	s_add_u32 s0, s8, s12
	v_addc_co_u32_e32 v10, vcc, 0, v2, vcc
	v_lshlrev_b32_e32 v1, 6, v0
	s_addc_u32 s1, s9, s13
	v_mov_b32_e32 v2, s1
	v_add_co_u32_e32 v11, vcc, s0, v1
	v_addc_co_u32_e32 v12, vcc, 0, v2, vcc
	s_lshl_b32 s20, s22, 6
	s_mov_b64 s[16:17], 0
	s_mov_b32 s21, 0x42fe0000
	v_mov_b32_e32 v13, 0x42fe0000
	s_mov_b32 s24, 0xc3000000
	v_mov_b32_e32 v14, 0xc3000000
.LBB0_14:                               ; =>This Inner Loop Header: Depth=1
	global_load_dwordx4 v[5:8], v[11:12], off
	global_load_dwordx4 v[1:4], v[11:12], off offset:16
	v_add_u32_e32 v0, s22, v0
	s_waitcnt vmcnt(1) lgkmcnt(0)
	v_div_scale_f32 v15, s[0:1], s23, s23, v5
	v_div_scale_f32 v16, s[0:1], s23, s23, v6
	v_div_scale_f32 v17, vcc, v5, s23, v5
	v_div_scale_f32 v18, s[0:1], v6, s23, v6
	v_div_scale_f32 v19, s[2:3], s23, s23, v7
	;; [unrolled: 1-line block ×3, first 2 shown]
	s_waitcnt vmcnt(0)
	v_div_scale_f32 v21, s[2:3], s23, s23, v1
	v_div_scale_f32 v22, s[2:3], s23, s23, v2
	v_rcp_f32_e32 v23, v15
	v_rcp_f32_e32 v24, v16
	v_fma_f32 v25, -v15, v23, 1.0
	v_fmac_f32_e32 v23, v25, v23
	v_fma_f32 v26, -v16, v24, 1.0
	v_mul_f32_e32 v25, v17, v23
	v_fmac_f32_e32 v24, v26, v24
	v_fma_f32 v26, -v15, v25, v17
	v_fmac_f32_e32 v25, v26, v23
	v_div_scale_f32 v26, s[2:3], v7, s23, v7
	v_fma_f32 v15, -v15, v25, v17
	v_div_fmas_f32 v23, v15, v23, v25
	v_mul_f32_e32 v15, v18, v24
	v_rcp_f32_e32 v17, v19
	v_fma_f32 v25, -v16, v15, v18
	v_fmac_f32_e32 v15, v25, v24
	v_rcp_f32_e32 v25, v20
	v_fma_f32 v16, -v16, v15, v18
	v_rcp_f32_e32 v18, v21
	s_mov_b64 vcc, s[0:1]
	v_div_fmas_f32 v24, v16, v24, v15
	v_rcp_f32_e32 v16, v22
	v_fma_f32 v15, -v19, v17, 1.0
	v_fmac_f32_e32 v17, v15, v17
	v_fma_f32 v15, -v20, v25, 1.0
	v_fmac_f32_e32 v25, v15, v25
	;; [unrolled: 2-line block ×4, first 2 shown]
	v_mul_f32_e32 v15, v26, v17
	v_fma_f32 v27, -v19, v15, v26
	v_fmac_f32_e32 v15, v27, v17
	v_fma_f32 v19, -v19, v15, v26
	v_div_scale_f32 v26, s[0:1], v8, s23, v8
	s_mov_b64 vcc, s[2:3]
	v_div_fmas_f32 v17, v19, v17, v15
	s_mov_b64 vcc, s[0:1]
	v_div_scale_f32 v27, s[0:1], s23, s23, v3
	v_div_scale_f32 v28, s[0:1], s23, s23, v4
	v_mul_f32_e32 v15, v26, v25
	v_fma_f32 v19, -v20, v15, v26
	v_fmac_f32_e32 v15, v19, v25
	v_div_scale_f32 v19, s[2:3], v1, s23, v1
	v_fma_f32 v20, -v20, v15, v26
	v_div_scale_f32 v26, s[4:5], v2, s23, v2
	v_div_fmas_f32 v25, v20, v25, v15
	s_mov_b64 vcc, s[2:3]
	v_mul_f32_e32 v15, v19, v18
	v_fma_f32 v20, -v21, v15, v19
	v_fmac_f32_e32 v15, v20, v18
	v_fma_f32 v19, -v21, v15, v19
	v_div_scale_f32 v21, s[0:1], v3, s23, v3
	v_div_fmas_f32 v15, v19, v18, v15
	v_mul_f32_e32 v18, v26, v16
	v_fma_f32 v19, -v22, v18, v26
	v_fmac_f32_e32 v18, v19, v16
	v_fma_f32 v19, -v22, v18, v26
	v_rcp_f32_e32 v22, v27
	v_rcp_f32_e32 v26, v28
	s_mov_b64 vcc, s[4:5]
	v_div_fmas_f32 v16, v19, v16, v18
	v_fma_f32 v18, -v27, v22, 1.0
	v_fmac_f32_e32 v22, v18, v22
	v_fma_f32 v18, -v28, v26, 1.0
	v_fmac_f32_e32 v26, v18, v26
	v_div_fixup_f32 v20, v23, s23, v5
	v_mul_f32_e32 v29, v21, v22
	v_fma_f32 v18, -v27, v29, v21
	v_fmac_f32_e32 v29, v18, v22
	v_div_fixup_f32 v19, v24, s23, v6
	v_div_fixup_f32 v18, v17, s23, v7
	;; [unrolled: 1-line block ×3, first 2 shown]
	global_load_dwordx4 v[5:8], v[11:12], off offset:32
	v_div_scale_f32 v23, s[2:3], v4, s23, v4
	v_fma_f32 v21, -v27, v29, v21
	s_mov_b64 vcc, s[0:1]
	v_div_fmas_f32 v21, v21, v22, v29
	s_mov_b64 vcc, s[2:3]
	v_mul_f32_e32 v22, v23, v26
	v_fma_f32 v24, -v28, v22, v23
	v_fmac_f32_e32 v22, v24, v26
	v_fma_f32 v23, -v28, v22, v23
	v_div_fmas_f32 v22, v23, v26, v22
	s_waitcnt vmcnt(0)
	v_div_scale_f32 v24, s[0:1], s23, s23, v5
	v_div_scale_f32 v25, s[0:1], v5, s23, v5
	s_mov_b64 vcc, s[0:1]
	v_rcp_f32_e32 v23, v24
	v_fma_f32 v26, -v24, v23, 1.0
	v_fmac_f32_e32 v23, v26, v23
	v_mul_f32_e32 v26, v25, v23
	v_fma_f32 v27, -v24, v26, v25
	v_fmac_f32_e32 v26, v27, v23
	v_fma_f32 v24, -v24, v26, v25
	v_div_scale_f32 v25, s[2:3], s23, s23, v6
	v_div_fmas_f32 v27, v24, v23, v26
	v_rcp_f32_e32 v23, v25
	v_fma_f32 v24, -v25, v23, 1.0
	v_fmac_f32_e32 v23, v24, v23
	v_div_scale_f32 v24, vcc, v6, s23, v6
	v_mul_f32_e32 v26, v24, v23
	v_fma_f32 v28, -v25, v26, v24
	v_fmac_f32_e32 v26, v28, v23
	v_fma_f32 v24, -v25, v26, v24
	v_div_fmas_f32 v28, v24, v23, v26
	v_div_scale_f32 v23, s[0:1], s23, s23, v7
	v_rcp_f32_e32 v24, v23
	v_fma_f32 v25, -v23, v24, 1.0
	v_fmac_f32_e32 v24, v25, v24
	v_div_scale_f32 v25, vcc, v7, s23, v7
	v_mul_f32_e32 v26, v25, v24
	v_fma_f32 v29, -v23, v26, v25
	v_fmac_f32_e32 v26, v29, v24
	v_fma_f32 v23, -v23, v26, v25
	v_div_fmas_f32 v29, v23, v24, v26
	v_div_scale_f32 v23, s[0:1], s23, s23, v8
	v_rcp_f32_e32 v24, v23
	v_fma_f32 v25, -v23, v24, 1.0
	v_fmac_f32_e32 v24, v25, v24
	v_div_scale_f32 v25, vcc, v8, s23, v8
	v_mul_f32_e32 v26, v25, v24
	v_fma_f32 v30, -v23, v26, v25
	v_fmac_f32_e32 v26, v30, v24
	v_fma_f32 v23, -v23, v26, v25
	v_div_fmas_f32 v30, v23, v24, v26
	v_div_fixup_f32 v23, v15, s23, v1
	v_div_fixup_f32 v24, v16, s23, v2
	;; [unrolled: 1-line block ×4, first 2 shown]
	global_load_dwordx4 v[1:4], v[11:12], off offset:48
	v_div_fixup_f32 v15, v28, s23, v6
	v_div_fixup_f32 v6, v29, s23, v7
	;; [unrolled: 1-line block ×3, first 2 shown]
	v_rndne_f32_e32 v16, v16
	v_rndne_f32_e32 v15, v15
	;; [unrolled: 1-line block ×3, first 2 shown]
	v_add_co_u32_e64 v11, s[14:15], s20, v11
	v_addc_co_u32_e64 v12, s[14:15], 0, v12, s[14:15]
	v_div_fixup_f32 v5, v30, s23, v8
	v_rndne_f32_e32 v5, v5
	v_cmp_le_i32_e64 s[14:15], s18, v0
	s_or_b64 s[16:17], s[14:15], s[16:17]
	s_waitcnt vmcnt(0)
	v_div_scale_f32 v7, s[0:1], s23, s23, v1
	v_div_scale_f32 v8, vcc, v1, s23, v1
	v_rcp_f32_e32 v21, v7
	v_fma_f32 v22, -v7, v21, 1.0
	v_fmac_f32_e32 v21, v22, v21
	v_mul_f32_e32 v22, v8, v21
	v_fma_f32 v27, -v7, v22, v8
	v_fmac_f32_e32 v22, v27, v21
	v_fma_f32 v7, -v7, v22, v8
	v_div_scale_f32 v8, s[0:1], s23, s23, v2
	v_div_fmas_f32 v7, v7, v21, v22
	v_rcp_f32_e32 v21, v8
	v_fma_f32 v22, -v8, v21, 1.0
	v_fmac_f32_e32 v21, v22, v21
	v_div_scale_f32 v22, vcc, v2, s23, v2
	v_mul_f32_e32 v27, v22, v21
	v_fma_f32 v28, -v8, v27, v22
	v_fmac_f32_e32 v27, v28, v21
	v_fma_f32 v8, -v8, v27, v22
	v_div_fmas_f32 v8, v8, v21, v27
	v_div_scale_f32 v21, s[0:1], s23, s23, v3
	v_div_fixup_f32 v2, v8, s23, v2
	v_rcp_f32_e32 v22, v21
	v_rndne_f32_e32 v2, v2
	v_fma_f32 v27, -v21, v22, 1.0
	v_fmac_f32_e32 v22, v27, v22
	v_div_scale_f32 v27, vcc, v3, s23, v3
	v_mul_f32_e32 v28, v27, v22
	v_fma_f32 v29, -v21, v28, v27
	v_fmac_f32_e32 v28, v29, v22
	v_fma_f32 v21, -v21, v28, v27
	v_div_fmas_f32 v21, v21, v22, v28
	v_div_scale_f32 v22, s[0:1], s23, s23, v4
	v_div_fixup_f32 v3, v21, s23, v3
	v_rcp_f32_e32 v27, v22
	v_fma_f32 v28, -v22, v27, 1.0
	v_fmac_f32_e32 v27, v28, v27
	v_div_scale_f32 v28, vcc, v4, s23, v4
	v_mul_f32_e32 v29, v28, v27
	v_fma_f32 v30, -v22, v29, v28
	v_fmac_f32_e32 v29, v30, v27
	v_fma_f32 v22, -v22, v29, v28
	v_div_fmas_f32 v22, v22, v27, v29
	v_rndne_f32_e32 v27, v20
	v_cmp_nlt_f32_e32 vcc, s21, v27
	v_cndmask_b32_e32 v20, v13, v27, vcc
	v_cmp_ngt_f32_e32 vcc, s24, v27
	v_rndne_f32_e32 v27, v19
	v_cmp_nlt_f32_e64 s[0:1], s21, v27
	v_cndmask_b32_e64 v19, v13, v27, s[0:1]
	v_cmp_ngt_f32_e64 s[0:1], s24, v27
	v_rndne_f32_e32 v27, v18
	v_cmp_nlt_f32_e64 s[2:3], s21, v27
	v_cndmask_b32_e64 v18, v13, v27, s[2:3]
	v_cmp_ngt_f32_e64 s[2:3], s24, v27
	;; [unrolled: 4-line block ×5, first 2 shown]
	v_rndne_f32_e32 v27, v25
	v_cndmask_b32_e32 v20, v14, v20, vcc
	v_cndmask_b32_e64 v19, v14, v19, s[0:1]
	v_cmp_nlt_f32_e64 s[10:11], s21, v27
	v_cvt_i32_f32_e32 v20, v20
	v_cvt_i32_f32_sdwa v19, v19 dst_sel:BYTE_1 dst_unused:UNUSED_PAD src0_sel:DWORD
	v_cndmask_b32_e64 v25, v13, v27, s[10:11]
	v_cmp_ngt_f32_e64 s[10:11], s24, v27
	v_rndne_f32_e32 v27, v26
	v_cmp_nlt_f32_e64 s[12:13], s21, v27
	v_cndmask_b32_e64 v18, v14, v18, s[2:3]
	v_cndmask_b32_e64 v17, v14, v17, s[4:5]
	;; [unrolled: 1-line block ×3, first 2 shown]
	v_cmp_ngt_f32_e64 s[12:13], s24, v27
	v_cvt_i32_f32_e32 v18, v18
	v_cvt_i32_f32_sdwa v17, v17 dst_sel:BYTE_1 dst_unused:UNUSED_PAD src0_sel:DWORD
	v_cndmask_b32_e64 v25, v14, v25, s[10:11]
	v_cmp_nlt_f32_e32 vcc, s21, v16
	v_or_b32_sdwa v19, v20, v19 dst_sel:DWORD dst_unused:UNUSED_PAD src0_sel:BYTE_0 src1_sel:DWORD
	v_cvt_i32_f32_e32 v20, v25
	v_cndmask_b32_e64 v25, v14, v26, s[12:13]
	v_cndmask_b32_e32 v26, v13, v16, vcc
	v_cmp_ngt_f32_e32 vcc, s24, v16
	v_cvt_i32_f32_sdwa v16, v25 dst_sel:BYTE_1 dst_unused:UNUSED_PAD src0_sel:DWORD
	v_cndmask_b32_e32 v25, v14, v26, vcc
	v_cmp_nlt_f32_e32 vcc, s21, v15
	v_cndmask_b32_e32 v26, v13, v15, vcc
	v_cmp_ngt_f32_e32 vcc, s24, v15
	v_or_b32_sdwa v15, v18, v17 dst_sel:WORD_1 dst_unused:UNUSED_PAD src0_sel:BYTE_0 src1_sel:DWORD
	v_cndmask_b32_e32 v18, v14, v26, vcc
	v_cmp_nlt_f32_e32 vcc, s21, v6
	v_cvt_i32_f32_e32 v17, v25
	v_cndmask_b32_e32 v25, v13, v6, vcc
	v_cmp_ngt_f32_e32 vcc, s24, v6
	v_div_fixup_f32 v6, v7, s23, v1
	v_cmp_nlt_f32_e64 s[0:1], s21, v5
	v_rndne_f32_e32 v6, v6
	v_cndmask_b32_e64 v23, v14, v23, s[6:7]
	v_cndmask_b32_e64 v24, v14, v24, s[8:9]
	;; [unrolled: 1-line block ×3, first 2 shown]
	v_cmp_ngt_f32_e64 s[0:1], s24, v5
	v_or_b32_sdwa v1, v19, v15 dst_sel:DWORD dst_unused:UNUSED_PAD src0_sel:WORD_0 src1_sel:DWORD
	v_cndmask_b32_e32 v15, v14, v25, vcc
	v_cmp_nlt_f32_e32 vcc, s21, v6
	v_cvt_i32_f32_e32 v23, v23
	v_cvt_i32_f32_sdwa v24, v24 dst_sel:BYTE_1 dst_unused:UNUSED_PAD src0_sel:DWORD
	v_cvt_i32_f32_sdwa v5, v18 dst_sel:BYTE_1 dst_unused:UNUSED_PAD src0_sel:DWORD
	v_cndmask_b32_e64 v7, v14, v7, s[0:1]
	v_cndmask_b32_e32 v18, v13, v6, vcc
	v_cmp_ngt_f32_e32 vcc, s24, v6
	v_cvt_i32_f32_sdwa v6, v7 dst_sel:BYTE_1 dst_unused:UNUSED_PAD src0_sel:DWORD
	v_cndmask_b32_e32 v7, v14, v18, vcc
	v_cmp_nlt_f32_e32 vcc, s21, v2
	v_cndmask_b32_e32 v18, v13, v2, vcc
	v_cmp_ngt_f32_e32 vcc, s24, v2
	v_rndne_f32_e32 v2, v3
	v_div_fixup_f32 v3, v22, s23, v4
	v_or_b32_sdwa v4, v20, v16 dst_sel:WORD_1 dst_unused:UNUSED_PAD src0_sel:BYTE_0 src1_sel:DWORD
	v_cndmask_b32_e32 v16, v14, v18, vcc
	v_cmp_nlt_f32_e32 vcc, s21, v2
	v_or_b32_sdwa v8, v23, v24 dst_sel:DWORD dst_unused:UNUSED_PAD src0_sel:BYTE_0 src1_sel:DWORD
	v_cndmask_b32_e32 v18, v13, v2, vcc
	v_cmp_ngt_f32_e32 vcc, s24, v2
	v_rndne_f32_e32 v3, v3
	v_or_b32_sdwa v2, v8, v4 dst_sel:DWORD dst_unused:UNUSED_PAD src0_sel:WORD_0 src1_sel:DWORD
	v_cndmask_b32_e32 v8, v14, v18, vcc
	v_cmp_nlt_f32_e32 vcc, s21, v3
	v_cvt_i32_f32_sdwa v4, v16 dst_sel:BYTE_1 dst_unused:UNUSED_PAD src0_sel:DWORD
	v_cndmask_b32_e32 v16, v13, v3, vcc
	v_cmp_ngt_f32_e32 vcc, s24, v3
	v_or_b32_sdwa v3, v17, v5 dst_sel:DWORD dst_unused:UNUSED_PAD src0_sel:BYTE_0 src1_sel:DWORD
	v_cvt_i32_f32_e32 v5, v8
	v_cndmask_b32_e32 v8, v14, v16, vcc
	v_cvt_i32_f32_e32 v15, v15
	v_cvt_i32_f32_e32 v7, v7
	v_cvt_i32_f32_sdwa v8, v8 dst_sel:BYTE_1 dst_unused:UNUSED_PAD src0_sel:DWORD
	v_or_b32_sdwa v6, v15, v6 dst_sel:WORD_1 dst_unused:UNUSED_PAD src0_sel:BYTE_0 src1_sel:DWORD
	v_or_b32_sdwa v4, v7, v4 dst_sel:DWORD dst_unused:UNUSED_PAD src0_sel:BYTE_0 src1_sel:DWORD
	v_or_b32_sdwa v5, v5, v8 dst_sel:WORD_1 dst_unused:UNUSED_PAD src0_sel:BYTE_0 src1_sel:DWORD
	v_or_b32_sdwa v3, v3, v6 dst_sel:DWORD dst_unused:UNUSED_PAD src0_sel:WORD_0 src1_sel:DWORD
	v_or_b32_sdwa v4, v4, v5 dst_sel:DWORD dst_unused:UNUSED_PAD src0_sel:WORD_0 src1_sel:DWORD
	global_store_dwordx4 v[9:10], v[1:4], off offset:-7
	v_add_co_u32_e32 v9, vcc, s19, v9
	v_addc_co_u32_e32 v10, vcc, 0, v10, vcc
	s_andn2_b64 exec, exec, s[16:17]
	s_cbranch_execnz .LBB0_14
.LBB0_15:
	s_endpgm
	.section	.rodata,"a",@progbits
	.p2align	6, 0x0
	.amdhsa_kernel _ZN4vllm31static_scaled_int8_quant_kernelIffEEvPKT_PaPKT0_i
		.amdhsa_group_segment_fixed_size 0
		.amdhsa_private_segment_fixed_size 0
		.amdhsa_kernarg_size 288
		.amdhsa_user_sgpr_count 6
		.amdhsa_user_sgpr_private_segment_buffer 1
		.amdhsa_user_sgpr_dispatch_ptr 0
		.amdhsa_user_sgpr_queue_ptr 0
		.amdhsa_user_sgpr_kernarg_segment_ptr 1
		.amdhsa_user_sgpr_dispatch_id 0
		.amdhsa_user_sgpr_flat_scratch_init 0
		.amdhsa_user_sgpr_private_segment_size 0
		.amdhsa_uses_dynamic_stack 0
		.amdhsa_system_sgpr_private_segment_wavefront_offset 0
		.amdhsa_system_sgpr_workgroup_id_x 1
		.amdhsa_system_sgpr_workgroup_id_y 0
		.amdhsa_system_sgpr_workgroup_id_z 0
		.amdhsa_system_sgpr_workgroup_info 0
		.amdhsa_system_vgpr_workitem_id 0
		.amdhsa_next_free_vgpr 32
		.amdhsa_next_free_sgpr 31
		.amdhsa_reserve_vcc 1
		.amdhsa_reserve_flat_scratch 0
		.amdhsa_float_round_mode_32 0
		.amdhsa_float_round_mode_16_64 0
		.amdhsa_float_denorm_mode_32 3
		.amdhsa_float_denorm_mode_16_64 3
		.amdhsa_dx10_clamp 1
		.amdhsa_ieee_mode 1
		.amdhsa_fp16_overflow 0
		.amdhsa_exception_fp_ieee_invalid_op 0
		.amdhsa_exception_fp_denorm_src 0
		.amdhsa_exception_fp_ieee_div_zero 0
		.amdhsa_exception_fp_ieee_overflow 0
		.amdhsa_exception_fp_ieee_underflow 0
		.amdhsa_exception_fp_ieee_inexact 0
		.amdhsa_exception_int_div_zero 0
	.end_amdhsa_kernel
	.section	.text._ZN4vllm31static_scaled_int8_quant_kernelIffEEvPKT_PaPKT0_i,"axG",@progbits,_ZN4vllm31static_scaled_int8_quant_kernelIffEEvPKT_PaPKT0_i,comdat
.Lfunc_end0:
	.size	_ZN4vllm31static_scaled_int8_quant_kernelIffEEvPKT_PaPKT0_i, .Lfunc_end0-_ZN4vllm31static_scaled_int8_quant_kernelIffEEvPKT_PaPKT0_i
                                        ; -- End function
	.set _ZN4vllm31static_scaled_int8_quant_kernelIffEEvPKT_PaPKT0_i.num_vgpr, 32
	.set _ZN4vllm31static_scaled_int8_quant_kernelIffEEvPKT_PaPKT0_i.num_agpr, 0
	.set _ZN4vllm31static_scaled_int8_quant_kernelIffEEvPKT_PaPKT0_i.numbered_sgpr, 31
	.set _ZN4vllm31static_scaled_int8_quant_kernelIffEEvPKT_PaPKT0_i.num_named_barrier, 0
	.set _ZN4vllm31static_scaled_int8_quant_kernelIffEEvPKT_PaPKT0_i.private_seg_size, 0
	.set _ZN4vllm31static_scaled_int8_quant_kernelIffEEvPKT_PaPKT0_i.uses_vcc, 1
	.set _ZN4vllm31static_scaled_int8_quant_kernelIffEEvPKT_PaPKT0_i.uses_flat_scratch, 0
	.set _ZN4vllm31static_scaled_int8_quant_kernelIffEEvPKT_PaPKT0_i.has_dyn_sized_stack, 0
	.set _ZN4vllm31static_scaled_int8_quant_kernelIffEEvPKT_PaPKT0_i.has_recursion, 0
	.set _ZN4vllm31static_scaled_int8_quant_kernelIffEEvPKT_PaPKT0_i.has_indirect_call, 0
	.section	.AMDGPU.csdata,"",@progbits
; Kernel info:
; codeLenInByte = 4872
; TotalNumSgprs: 35
; NumVgprs: 32
; ScratchSize: 0
; MemoryBound: 0
; FloatMode: 240
; IeeeMode: 1
; LDSByteSize: 0 bytes/workgroup (compile time only)
; SGPRBlocks: 4
; VGPRBlocks: 7
; NumSGPRsForWavesPerEU: 35
; NumVGPRsForWavesPerEU: 32
; Occupancy: 8
; WaveLimiterHint : 0
; COMPUTE_PGM_RSRC2:SCRATCH_EN: 0
; COMPUTE_PGM_RSRC2:USER_SGPR: 6
; COMPUTE_PGM_RSRC2:TRAP_HANDLER: 0
; COMPUTE_PGM_RSRC2:TGID_X_EN: 1
; COMPUTE_PGM_RSRC2:TGID_Y_EN: 0
; COMPUTE_PGM_RSRC2:TGID_Z_EN: 0
; COMPUTE_PGM_RSRC2:TIDIG_COMP_CNT: 0
	.section	.text._ZN4vllm35static_scaled_int8_azp_quant_kernelIffiEEvPKT_PaPKT0_PKT1_i,"axG",@progbits,_ZN4vllm35static_scaled_int8_azp_quant_kernelIffiEEvPKT_PaPKT0_PKT1_i,comdat
	.protected	_ZN4vllm35static_scaled_int8_azp_quant_kernelIffiEEvPKT_PaPKT0_PKT1_i ; -- Begin function _ZN4vllm35static_scaled_int8_azp_quant_kernelIffiEEvPKT_PaPKT0_PKT1_i
	.globl	_ZN4vllm35static_scaled_int8_azp_quant_kernelIffiEEvPKT_PaPKT0_PKT1_i
	.p2align	8
	.type	_ZN4vllm35static_scaled_int8_azp_quant_kernelIffiEEvPKT_PaPKT0_PKT1_i,@function
_ZN4vllm35static_scaled_int8_azp_quant_kernelIffiEEvPKT_PaPKT0_PKT1_i: ; @_ZN4vllm35static_scaled_int8_azp_quant_kernelIffiEEvPKT_PaPKT0_PKT1_i
; %bb.0:
	s_load_dwordx8 s[8:15], s[4:5], 0x0
	s_waitcnt lgkmcnt(0)
	s_load_dword s7, s[12:13], 0x0
	s_mov_b32 s13, 0
	s_waitcnt lgkmcnt(0)
	v_div_scale_f32 v1, s[0:1], s7, s7, 1.0
	v_div_scale_f32 v2, vcc, 1.0, s7, 1.0
	s_load_dword s20, s[4:5], 0x20
	s_load_dword s0, s[4:5], 0x34
	;; [unrolled: 1-line block ×3, first 2 shown]
	s_mov_b64 s[4:5], -1
	s_waitcnt lgkmcnt(0)
	s_ashr_i32 s1, s20, 31
	s_and_b32 s18, s0, 0xffff
	s_mul_hi_u32 s0, s20, s6
	s_mul_i32 s1, s1, s6
	s_mul_i32 s2, s20, s6
	s_add_i32 s3, s0, s1
	s_lshl_b64 s[0:1], s[2:3], 2
	s_add_u32 s6, s8, s0
	v_rcp_f32_e32 v3, v1
	s_and_b32 s12, s6, 63
	s_cmp_lg_u64 s[12:13], 0
	s_cselect_b64 s[12:13], -1, 0
	v_fma_f32 v4, -v1, v3, 1.0
	v_fmac_f32_e32 v3, v4, v3
	v_mul_f32_e32 v4, v2, v3
	v_fma_f32 v5, -v1, v4, v2
	v_fmac_f32_e32 v4, v5, v3
	v_fma_f32 v1, -v1, v4, v2
	v_div_fmas_f32 v1, v1, v3, v4
	s_and_b32 s14, s20, 15
	s_cmp_lg_u32 s14, 0
	s_cselect_b64 s[14:15], -1, 0
	s_or_b64 s[12:13], s[14:15], s[12:13]
	s_and_b64 vcc, exec, s[12:13]
	v_div_fixup_f32 v21, v1, s7, 1.0
	s_cbranch_vccz .LBB1_83
; %bb.1:
	s_sub_i32 s4, 0, s6
	s_bfe_u32 s4, s4, 0x40002
	s_min_i32 s4, s4, s20
	v_cmp_gt_i32_e32 vcc, s4, v0
	s_and_saveexec_b64 s[6:7], vcc
	s_cbranch_execz .LBB1_8
; %bb.2:
	s_add_u32 s5, s10, s2
	s_addc_u32 s14, s11, s3
	s_add_u32 s12, s8, s0
	v_mov_b32_e32 v1, 0
	v_lshlrev_b32_e32 v2, 2, v0
	s_addc_u32 s13, s9, s1
	v_mov_b32_e32 v3, s13
	v_add_co_u32_e32 v2, vcc, s12, v2
	v_mov_b32_e32 v5, v1
	v_addc_co_u32_e32 v3, vcc, 0, v3, vcc
	s_lshl_b32 s21, s18, 2
	s_mov_b64 s[12:13], 0
	s_mov_b32 s22, 0x4f000000
	s_mov_b32 s23, 0xcf000000
	v_mov_b32_e32 v6, s14
	s_movk_i32 s24, 0xff80
	v_mov_b32_e32 v7, 0x7f
	v_mov_b32_e32 v4, v0
	s_branch .LBB1_5
.LBB1_3:                                ;   in Loop: Header=BB1_5 Depth=1
	s_or_b64 exec, exec, s[16:17]
.LBB1_4:                                ;   in Loop: Header=BB1_5 Depth=1
	s_or_b64 exec, exec, s[14:15]
	v_add_co_u32_e32 v8, vcc, s5, v4
	v_addc_co_u32_e32 v9, vcc, v6, v5, vcc
	v_add_co_u32_e32 v4, vcc, s18, v4
	v_addc_co_u32_e32 v5, vcc, 0, v5, vcc
	v_cmp_le_i32_e32 vcc, s4, v4
	v_add_u32_e32 v1, s19, v1
	s_or_b64 s[12:13], vcc, s[12:13]
	v_add_co_u32_e32 v2, vcc, s21, v2
	v_med3_i32 v1, v1, s24, v7
	v_addc_co_u32_e32 v3, vcc, 0, v3, vcc
	global_store_byte v[8:9], v1, off
	s_andn2_b64 exec, exec, s[12:13]
	s_cbranch_execz .LBB1_8
.LBB1_5:                                ; =>This Inner Loop Header: Depth=1
	global_load_dword v1, v[2:3], off
	s_waitcnt vmcnt(0)
	v_mul_f32_e32 v1, v21, v1
	v_rndne_f32_e32 v8, v1
	v_cmp_nle_f32_e32 vcc, s22, v8
	v_bfrev_b32_e32 v1, -2
	s_and_saveexec_b64 s[14:15], vcc
	s_cbranch_execz .LBB1_4
; %bb.6:                                ;   in Loop: Header=BB1_5 Depth=1
	v_cmp_nge_f32_e32 vcc, s23, v8
	v_bfrev_b32_e32 v1, 1
	s_and_saveexec_b64 s[16:17], vcc
	s_cbranch_execz .LBB1_3
; %bb.7:                                ;   in Loop: Header=BB1_5 Depth=1
	v_cvt_i32_f32_e32 v1, v8
	s_branch .LBB1_3
.LBB1_8:
	s_or_b64 exec, exec, s[6:7]
	s_sub_i32 s21, s20, s4
	s_ashr_i32 s6, s21, 31
	s_lshr_b32 s6, s6, 28
	s_add_i32 s6, s21, s6
	s_ashr_i32 s22, s6, 4
	s_ashr_i32 s5, s4, 31
	v_cmp_gt_i32_e32 vcc, s22, v0
	s_and_saveexec_b64 s[6:7], vcc
	s_cbranch_execz .LBB1_75
; %bb.9:
	s_add_u32 s12, s4, s2
	s_addc_u32 s13, s5, s3
	s_add_u32 s12, s10, s12
	v_lshlrev_b32_e32 v1, 4, v0
	s_addc_u32 s13, s11, s13
	v_mov_b32_e32 v2, s13
	v_add_co_u32_e32 v1, vcc, s12, v1
	s_lshl_b32 s23, s18, 4
	s_lshl_b64 s[12:13], s[4:5], 2
	s_add_u32 s12, s8, s12
	v_addc_co_u32_e32 v2, vcc, 0, v2, vcc
	s_addc_u32 s13, s9, s13
	v_add_co_u32_e32 v17, vcc, 7, v1
	s_add_u32 s12, s12, s0
	v_addc_co_u32_e32 v18, vcc, 0, v2, vcc
	v_lshlrev_b32_e32 v1, 6, v0
	s_addc_u32 s13, s13, s1
	v_mov_b32_e32 v2, s13
	v_add_co_u32_e32 v19, vcc, s12, v1
	v_addc_co_u32_e32 v20, vcc, 0, v2, vcc
	s_lshl_b32 s24, s18, 6
	s_mov_b64 s[12:13], 0
	s_mov_b32 s25, 0x4f000000
	s_mov_b32 s26, 0xcf000000
	s_movk_i32 s27, 0xff80
	v_mov_b32_e32 v22, 0x7f
	v_mov_b32_e32 v23, v0
	s_branch .LBB1_12
.LBB1_10:                               ;   in Loop: Header=BB1_12 Depth=1
	s_or_b64 exec, exec, s[16:17]
.LBB1_11:                               ;   in Loop: Header=BB1_12 Depth=1
	s_or_b64 exec, exec, s[14:15]
	v_add_u32_e32 v4, s19, v8
	v_add_u32_e32 v2, s19, v2
	;; [unrolled: 1-line block ×3, first 2 shown]
	v_med3_i32 v4, v4, s27, v22
	v_add_u32_e32 v1, s19, v1
	v_med3_i32 v2, v2, s27, v22
	v_med3_i32 v3, v3, s27, v22
	;; [unrolled: 1-line block ×3, first 2 shown]
	v_add_u32_e32 v7, s19, v7
	v_add_u32_e32 v8, s19, v12
	v_lshlrev_b16_e32 v4, 8, v4
	v_lshlrev_b16_e32 v2, 8, v2
	v_med3_i32 v7, v7, s27, v22
	v_add_u32_e32 v6, s19, v6
	v_med3_i32 v8, v8, s27, v22
	v_add_u32_e32 v5, s19, v5
	v_or_b32_sdwa v1, v1, v4 dst_sel:DWORD dst_unused:UNUSED_PAD src0_sel:BYTE_0 src1_sel:DWORD
	v_or_b32_sdwa v2, v3, v2 dst_sel:WORD_1 dst_unused:UNUSED_PAD src0_sel:BYTE_0 src1_sel:DWORD
	v_med3_i32 v6, v6, s27, v22
	v_med3_i32 v5, v5, s27, v22
	v_add_u32_e32 v11, s19, v11
	v_add_u32_e32 v12, s19, v16
	v_or_b32_sdwa v4, v1, v2 dst_sel:DWORD dst_unused:UNUSED_PAD src0_sel:WORD_0 src1_sel:DWORD
	v_lshlrev_b16_e32 v1, 8, v8
	v_lshlrev_b16_e32 v2, 8, v7
	v_med3_i32 v11, v11, s27, v22
	v_add_u32_e32 v10, s19, v10
	v_med3_i32 v12, v12, s27, v22
	v_add_u32_e32 v9, s19, v9
	v_or_b32_sdwa v1, v5, v1 dst_sel:DWORD dst_unused:UNUSED_PAD src0_sel:BYTE_0 src1_sel:DWORD
	v_or_b32_sdwa v2, v6, v2 dst_sel:WORD_1 dst_unused:UNUSED_PAD src0_sel:BYTE_0 src1_sel:DWORD
	v_med3_i32 v10, v10, s27, v22
	v_med3_i32 v9, v9, s27, v22
	v_add_u32_e32 v15, s19, v15
	v_add_u32_e32 v16, s19, v24
	v_or_b32_sdwa v3, v1, v2 dst_sel:DWORD dst_unused:UNUSED_PAD src0_sel:WORD_0 src1_sel:DWORD
	v_lshlrev_b16_e32 v1, 8, v12
	v_lshlrev_b16_e32 v2, 8, v11
	v_med3_i32 v15, v15, s27, v22
	v_add_u32_e32 v14, s19, v14
	v_med3_i32 v16, v16, s27, v22
	v_add_u32_e32 v13, s19, v13
	v_or_b32_sdwa v1, v9, v1 dst_sel:DWORD dst_unused:UNUSED_PAD src0_sel:BYTE_0 src1_sel:DWORD
	v_or_b32_sdwa v2, v10, v2 dst_sel:WORD_1 dst_unused:UNUSED_PAD src0_sel:BYTE_0 src1_sel:DWORD
	v_med3_i32 v14, v14, s27, v22
	v_med3_i32 v13, v13, s27, v22
	v_or_b32_sdwa v2, v1, v2 dst_sel:DWORD dst_unused:UNUSED_PAD src0_sel:WORD_0 src1_sel:DWORD
	v_lshlrev_b16_e32 v1, 8, v16
	v_lshlrev_b16_e32 v5, 8, v15
	v_or_b32_sdwa v1, v13, v1 dst_sel:DWORD dst_unused:UNUSED_PAD src0_sel:BYTE_0 src1_sel:DWORD
	v_or_b32_sdwa v5, v14, v5 dst_sel:WORD_1 dst_unused:UNUSED_PAD src0_sel:BYTE_0 src1_sel:DWORD
	v_or_b32_sdwa v1, v1, v5 dst_sel:DWORD dst_unused:UNUSED_PAD src0_sel:WORD_0 src1_sel:DWORD
	global_store_dwordx4 v[17:18], v[1:4], off offset:-7
	v_add_co_u32_e32 v17, vcc, s23, v17
	v_add_u32_e32 v23, s18, v23
	v_addc_co_u32_e32 v18, vcc, 0, v18, vcc
	v_cmp_le_i32_e32 vcc, s22, v23
	s_or_b64 s[12:13], vcc, s[12:13]
	v_add_co_u32_e32 v19, vcc, s24, v19
	v_addc_co_u32_e32 v20, vcc, 0, v20, vcc
	s_andn2_b64 exec, exec, s[12:13]
	s_cbranch_execz .LBB1_75
.LBB1_12:                               ; =>This Inner Loop Header: Depth=1
	global_load_dwordx4 v[13:16], v[19:20], off
	global_load_dwordx4 v[9:12], v[19:20], off offset:16
	global_load_dwordx4 v[1:4], v[19:20], off offset:48
	;; [unrolled: 1-line block ×3, first 2 shown]
	v_bfrev_b32_e32 v24, -2
	s_waitcnt vmcnt(3)
	v_mul_f32_e32 v13, v21, v13
	v_rndne_f32_e32 v25, v13
	v_cmp_nle_f32_e32 vcc, s25, v25
	v_bfrev_b32_e32 v13, -2
	s_and_saveexec_b64 s[14:15], vcc
	s_cbranch_execz .LBB1_16
; %bb.13:                               ;   in Loop: Header=BB1_12 Depth=1
	v_cmp_nge_f32_e32 vcc, s26, v25
	v_bfrev_b32_e32 v13, 1
	s_and_saveexec_b64 s[16:17], vcc
; %bb.14:                               ;   in Loop: Header=BB1_12 Depth=1
	v_cvt_i32_f32_e32 v13, v25
; %bb.15:                               ;   in Loop: Header=BB1_12 Depth=1
	s_or_b64 exec, exec, s[16:17]
.LBB1_16:                               ;   in Loop: Header=BB1_12 Depth=1
	s_or_b64 exec, exec, s[14:15]
	v_mul_f32_e32 v14, v21, v14
	v_rndne_f32_e32 v14, v14
	v_cmp_nle_f32_e32 vcc, s25, v14
	s_and_saveexec_b64 s[14:15], vcc
	s_cbranch_execz .LBB1_20
; %bb.17:                               ;   in Loop: Header=BB1_12 Depth=1
	v_cmp_nge_f32_e32 vcc, s26, v14
	v_bfrev_b32_e32 v24, 1
	s_and_saveexec_b64 s[16:17], vcc
; %bb.18:                               ;   in Loop: Header=BB1_12 Depth=1
	v_cvt_i32_f32_e32 v24, v14
; %bb.19:                               ;   in Loop: Header=BB1_12 Depth=1
	s_or_b64 exec, exec, s[16:17]
.LBB1_20:                               ;   in Loop: Header=BB1_12 Depth=1
	s_or_b64 exec, exec, s[14:15]
	v_mul_f32_e32 v14, v21, v15
	v_rndne_f32_e32 v25, v14
	v_cmp_nle_f32_e32 vcc, s25, v25
	v_bfrev_b32_e32 v15, -2
	v_bfrev_b32_e32 v14, -2
	s_and_saveexec_b64 s[14:15], vcc
	s_cbranch_execz .LBB1_24
; %bb.21:                               ;   in Loop: Header=BB1_12 Depth=1
	v_cmp_nge_f32_e32 vcc, s26, v25
	v_bfrev_b32_e32 v14, 1
	s_and_saveexec_b64 s[16:17], vcc
; %bb.22:                               ;   in Loop: Header=BB1_12 Depth=1
	v_cvt_i32_f32_e32 v14, v25
; %bb.23:                               ;   in Loop: Header=BB1_12 Depth=1
	s_or_b64 exec, exec, s[16:17]
.LBB1_24:                               ;   in Loop: Header=BB1_12 Depth=1
	s_or_b64 exec, exec, s[14:15]
	v_mul_f32_e32 v16, v21, v16
	v_rndne_f32_e32 v16, v16
	v_cmp_nle_f32_e32 vcc, s25, v16
	s_and_saveexec_b64 s[14:15], vcc
	s_cbranch_execz .LBB1_28
; %bb.25:                               ;   in Loop: Header=BB1_12 Depth=1
	v_cmp_nge_f32_e32 vcc, s26, v16
	v_bfrev_b32_e32 v15, 1
	s_and_saveexec_b64 s[16:17], vcc
; %bb.26:                               ;   in Loop: Header=BB1_12 Depth=1
	v_cvt_i32_f32_e32 v15, v16
; %bb.27:                               ;   in Loop: Header=BB1_12 Depth=1
	s_or_b64 exec, exec, s[16:17]
.LBB1_28:                               ;   in Loop: Header=BB1_12 Depth=1
	s_or_b64 exec, exec, s[14:15]
	s_waitcnt vmcnt(2)
	v_mul_f32_e32 v9, v21, v9
	v_rndne_f32_e32 v25, v9
	v_cmp_nle_f32_e32 vcc, s25, v25
	v_bfrev_b32_e32 v16, -2
	v_bfrev_b32_e32 v9, -2
	s_and_saveexec_b64 s[14:15], vcc
	s_cbranch_execz .LBB1_32
; %bb.29:                               ;   in Loop: Header=BB1_12 Depth=1
	v_cmp_nge_f32_e32 vcc, s26, v25
	v_bfrev_b32_e32 v9, 1
	s_and_saveexec_b64 s[16:17], vcc
; %bb.30:                               ;   in Loop: Header=BB1_12 Depth=1
	v_cvt_i32_f32_e32 v9, v25
; %bb.31:                               ;   in Loop: Header=BB1_12 Depth=1
	s_or_b64 exec, exec, s[16:17]
.LBB1_32:                               ;   in Loop: Header=BB1_12 Depth=1
	s_or_b64 exec, exec, s[14:15]
	v_mul_f32_e32 v10, v21, v10
	v_rndne_f32_e32 v10, v10
	v_cmp_nle_f32_e32 vcc, s25, v10
	s_and_saveexec_b64 s[14:15], vcc
	s_cbranch_execz .LBB1_36
; %bb.33:                               ;   in Loop: Header=BB1_12 Depth=1
	v_cmp_nge_f32_e32 vcc, s26, v10
	v_bfrev_b32_e32 v16, 1
	s_and_saveexec_b64 s[16:17], vcc
; %bb.34:                               ;   in Loop: Header=BB1_12 Depth=1
	v_cvt_i32_f32_e32 v16, v10
; %bb.35:                               ;   in Loop: Header=BB1_12 Depth=1
	s_or_b64 exec, exec, s[16:17]
.LBB1_36:                               ;   in Loop: Header=BB1_12 Depth=1
	s_or_b64 exec, exec, s[14:15]
	v_mul_f32_e32 v10, v21, v11
	v_rndne_f32_e32 v25, v10
	v_cmp_nle_f32_e32 vcc, s25, v25
	v_bfrev_b32_e32 v11, -2
	v_bfrev_b32_e32 v10, -2
	s_and_saveexec_b64 s[14:15], vcc
	s_cbranch_execz .LBB1_40
; %bb.37:                               ;   in Loop: Header=BB1_12 Depth=1
	v_cmp_nge_f32_e32 vcc, s26, v25
	v_bfrev_b32_e32 v10, 1
	s_and_saveexec_b64 s[16:17], vcc
; %bb.38:                               ;   in Loop: Header=BB1_12 Depth=1
	v_cvt_i32_f32_e32 v10, v25
; %bb.39:                               ;   in Loop: Header=BB1_12 Depth=1
	s_or_b64 exec, exec, s[16:17]
.LBB1_40:                               ;   in Loop: Header=BB1_12 Depth=1
	s_or_b64 exec, exec, s[14:15]
	v_mul_f32_e32 v12, v21, v12
	v_rndne_f32_e32 v12, v12
	v_cmp_nle_f32_e32 vcc, s25, v12
	s_and_saveexec_b64 s[14:15], vcc
	s_cbranch_execz .LBB1_44
; %bb.41:                               ;   in Loop: Header=BB1_12 Depth=1
	v_cmp_nge_f32_e32 vcc, s26, v12
	v_bfrev_b32_e32 v11, 1
	s_and_saveexec_b64 s[16:17], vcc
; %bb.42:                               ;   in Loop: Header=BB1_12 Depth=1
	v_cvt_i32_f32_e32 v11, v12
; %bb.43:                               ;   in Loop: Header=BB1_12 Depth=1
	s_or_b64 exec, exec, s[16:17]
.LBB1_44:                               ;   in Loop: Header=BB1_12 Depth=1
	s_or_b64 exec, exec, s[14:15]
	s_waitcnt vmcnt(0)
	v_mul_f32_e32 v5, v21, v5
	v_rndne_f32_e32 v25, v5
	v_cmp_nle_f32_e32 vcc, s25, v25
	v_bfrev_b32_e32 v12, -2
	v_bfrev_b32_e32 v5, -2
	s_and_saveexec_b64 s[14:15], vcc
	s_cbranch_execz .LBB1_48
; %bb.45:                               ;   in Loop: Header=BB1_12 Depth=1
	v_cmp_nge_f32_e32 vcc, s26, v25
	v_bfrev_b32_e32 v5, 1
	s_and_saveexec_b64 s[16:17], vcc
; %bb.46:                               ;   in Loop: Header=BB1_12 Depth=1
	v_cvt_i32_f32_e32 v5, v25
; %bb.47:                               ;   in Loop: Header=BB1_12 Depth=1
	s_or_b64 exec, exec, s[16:17]
.LBB1_48:                               ;   in Loop: Header=BB1_12 Depth=1
	s_or_b64 exec, exec, s[14:15]
	v_mul_f32_e32 v6, v21, v6
	v_rndne_f32_e32 v6, v6
	v_cmp_nle_f32_e32 vcc, s25, v6
	s_and_saveexec_b64 s[14:15], vcc
	s_cbranch_execz .LBB1_52
; %bb.49:                               ;   in Loop: Header=BB1_12 Depth=1
	v_cmp_nge_f32_e32 vcc, s26, v6
	v_bfrev_b32_e32 v12, 1
	s_and_saveexec_b64 s[16:17], vcc
; %bb.50:                               ;   in Loop: Header=BB1_12 Depth=1
	v_cvt_i32_f32_e32 v12, v6
; %bb.51:                               ;   in Loop: Header=BB1_12 Depth=1
	s_or_b64 exec, exec, s[16:17]
.LBB1_52:                               ;   in Loop: Header=BB1_12 Depth=1
	s_or_b64 exec, exec, s[14:15]
	v_mul_f32_e32 v6, v21, v7
	v_rndne_f32_e32 v25, v6
	v_cmp_nle_f32_e32 vcc, s25, v25
	v_bfrev_b32_e32 v7, -2
	v_bfrev_b32_e32 v6, -2
	s_and_saveexec_b64 s[14:15], vcc
	s_cbranch_execz .LBB1_56
; %bb.53:                               ;   in Loop: Header=BB1_12 Depth=1
	v_cmp_nge_f32_e32 vcc, s26, v25
	v_bfrev_b32_e32 v6, 1
	s_and_saveexec_b64 s[16:17], vcc
; %bb.54:                               ;   in Loop: Header=BB1_12 Depth=1
	v_cvt_i32_f32_e32 v6, v25
; %bb.55:                               ;   in Loop: Header=BB1_12 Depth=1
	s_or_b64 exec, exec, s[16:17]
.LBB1_56:                               ;   in Loop: Header=BB1_12 Depth=1
	s_or_b64 exec, exec, s[14:15]
	v_mul_f32_e32 v8, v21, v8
	v_rndne_f32_e32 v8, v8
	v_cmp_nle_f32_e32 vcc, s25, v8
	s_and_saveexec_b64 s[14:15], vcc
	s_cbranch_execz .LBB1_60
; %bb.57:                               ;   in Loop: Header=BB1_12 Depth=1
	v_cmp_nge_f32_e32 vcc, s26, v8
	v_bfrev_b32_e32 v7, 1
	s_and_saveexec_b64 s[16:17], vcc
; %bb.58:                               ;   in Loop: Header=BB1_12 Depth=1
	v_cvt_i32_f32_e32 v7, v8
; %bb.59:                               ;   in Loop: Header=BB1_12 Depth=1
	s_or_b64 exec, exec, s[16:17]
.LBB1_60:                               ;   in Loop: Header=BB1_12 Depth=1
	s_or_b64 exec, exec, s[14:15]
	;; [unrolled: 32-line block ×3, first 2 shown]
	v_mul_f32_e32 v2, v21, v3
	v_rndne_f32_e32 v25, v2
	v_cmp_nle_f32_e32 vcc, s25, v25
	v_bfrev_b32_e32 v2, -2
	v_bfrev_b32_e32 v3, -2
	s_and_saveexec_b64 s[14:15], vcc
	s_cbranch_execz .LBB1_72
; %bb.69:                               ;   in Loop: Header=BB1_12 Depth=1
	v_cmp_nge_f32_e32 vcc, s26, v25
	v_bfrev_b32_e32 v3, 1
	s_and_saveexec_b64 s[16:17], vcc
; %bb.70:                               ;   in Loop: Header=BB1_12 Depth=1
	v_cvt_i32_f32_e32 v3, v25
; %bb.71:                               ;   in Loop: Header=BB1_12 Depth=1
	s_or_b64 exec, exec, s[16:17]
.LBB1_72:                               ;   in Loop: Header=BB1_12 Depth=1
	s_or_b64 exec, exec, s[14:15]
	v_mul_f32_e32 v4, v21, v4
	v_rndne_f32_e32 v4, v4
	v_cmp_nle_f32_e32 vcc, s25, v4
	s_and_saveexec_b64 s[14:15], vcc
	s_cbranch_execz .LBB1_11
; %bb.73:                               ;   in Loop: Header=BB1_12 Depth=1
	v_cmp_nge_f32_e32 vcc, s26, v4
	v_bfrev_b32_e32 v2, 1
	s_and_saveexec_b64 s[16:17], vcc
	s_cbranch_execz .LBB1_10
; %bb.74:                               ;   in Loop: Header=BB1_12 Depth=1
	v_cvt_i32_f32_e32 v2, v4
	s_branch .LBB1_10
.LBB1_75:
	s_or_b64 exec, exec, s[6:7]
	v_lshl_add_u32 v1, s22, 4, v0
	v_cmp_gt_i32_e32 vcc, s21, v1
	s_and_saveexec_b64 s[6:7], vcc
	s_cbranch_execz .LBB1_82
; %bb.76:
	s_lshl_b64 s[12:13], s[4:5], 2
	s_add_u32 s12, s0, s12
	s_addc_u32 s13, s1, s13
	s_add_u32 s12, s8, s12
	v_ashrrev_i32_e32 v2, 31, v1
	s_addc_u32 s13, s9, s13
	s_lshl_b32 s22, s18, 2
	v_lshlrev_b64 v[3:4], 2, v[1:2]
	s_add_u32 s4, s4, s2
	s_addc_u32 s5, s5, s3
	v_mov_b32_e32 v5, s13
	v_add_co_u32_e32 v3, vcc, s12, v3
	s_add_u32 s4, s10, s4
	v_addc_co_u32_e32 v4, vcc, v5, v4, vcc
	s_addc_u32 s5, s11, s5
	v_mov_b32_e32 v6, s5
	v_add_co_u32_e32 v5, vcc, s4, v1
	v_addc_co_u32_e32 v2, vcc, v6, v2, vcc
	s_mov_b64 s[4:5], 0
	s_mov_b32 s23, 0x4f000000
	s_mov_b32 s24, 0xcf000000
	s_movk_i32 s25, 0xff80
	v_mov_b32_e32 v6, 0x7f
	s_mov_b64 s[12:13], 0
	s_branch .LBB1_79
.LBB1_77:                               ;   in Loop: Header=BB1_79 Depth=1
	s_or_b64 exec, exec, s[16:17]
.LBB1_78:                               ;   in Loop: Header=BB1_79 Depth=1
	s_or_b64 exec, exec, s[14:15]
	v_mov_b32_e32 v9, s13
	v_add_co_u32_e32 v8, vcc, s12, v5
	v_add_u32_e32 v7, s19, v7
	v_addc_co_u32_e32 v9, vcc, v2, v9, vcc
	v_med3_i32 v7, v7, s25, v6
	s_add_u32 s12, s12, s18
	global_store_byte v[8:9], v7, off
	v_add_u32_e32 v7, s12, v1
	s_addc_u32 s13, s13, 0
	v_cmp_le_i32_e32 vcc, s21, v7
	s_or_b64 s[4:5], vcc, s[4:5]
	v_add_co_u32_e32 v3, vcc, s22, v3
	v_addc_co_u32_e32 v4, vcc, 0, v4, vcc
	s_andn2_b64 exec, exec, s[4:5]
	s_cbranch_execz .LBB1_82
.LBB1_79:                               ; =>This Inner Loop Header: Depth=1
	global_load_dword v7, v[3:4], off
	s_waitcnt vmcnt(0)
	v_mul_f32_e32 v7, v21, v7
	v_rndne_f32_e32 v8, v7
	v_cmp_nle_f32_e32 vcc, s23, v8
	v_bfrev_b32_e32 v7, -2
	s_and_saveexec_b64 s[14:15], vcc
	s_cbranch_execz .LBB1_78
; %bb.80:                               ;   in Loop: Header=BB1_79 Depth=1
	v_cmp_nge_f32_e32 vcc, s24, v8
	v_bfrev_b32_e32 v7, 1
	s_and_saveexec_b64 s[16:17], vcc
	s_cbranch_execz .LBB1_77
; %bb.81:                               ;   in Loop: Header=BB1_79 Depth=1
	v_cvt_i32_f32_e32 v7, v8
	s_branch .LBB1_77
.LBB1_82:
	s_or_b64 exec, exec, s[6:7]
	s_mov_b64 s[4:5], 0
.LBB1_83:
	s_and_b64 vcc, exec, s[4:5]
	s_cbranch_vccz .LBB1_151
; %bb.84:
	s_ashr_i32 s6, s20, 4
	v_cmp_gt_i32_e32 vcc, s6, v0
	s_and_saveexec_b64 s[4:5], vcc
	s_cbranch_execz .LBB1_151
; %bb.85:
	s_add_u32 s2, s10, s2
	v_lshlrev_b32_e32 v1, 4, v0
	s_addc_u32 s3, s11, s3
	v_mov_b32_e32 v2, s3
	v_add_co_u32_e32 v1, vcc, s2, v1
	v_addc_co_u32_e32 v2, vcc, 0, v2, vcc
	s_lshl_b32 s7, s18, 4
	v_add_co_u32_e32 v17, vcc, 7, v1
	s_add_u32 s0, s8, s0
	v_addc_co_u32_e32 v18, vcc, 0, v2, vcc
	v_lshlrev_b32_e32 v1, 6, v0
	s_addc_u32 s1, s9, s1
	v_mov_b32_e32 v2, s1
	v_add_co_u32_e32 v19, vcc, s0, v1
	v_addc_co_u32_e32 v20, vcc, 0, v2, vcc
	s_lshl_b32 s8, s18, 6
	s_mov_b64 s[0:1], 0
	s_mov_b32 s9, 0x4f000000
	s_mov_b32 s10, 0xcf000000
	s_movk_i32 s11, 0xff80
	v_mov_b32_e32 v22, 0x7f
	s_branch .LBB1_88
.LBB1_86:                               ;   in Loop: Header=BB1_88 Depth=1
	s_or_b64 exec, exec, s[4:5]
.LBB1_87:                               ;   in Loop: Header=BB1_88 Depth=1
	s_or_b64 exec, exec, s[2:3]
	v_add_u32_e32 v4, s19, v8
	v_add_u32_e32 v2, s19, v2
	;; [unrolled: 1-line block ×3, first 2 shown]
	v_med3_i32 v4, v4, s11, v22
	v_add_u32_e32 v1, s19, v1
	v_med3_i32 v2, v2, s11, v22
	v_med3_i32 v3, v3, s11, v22
	;; [unrolled: 1-line block ×3, first 2 shown]
	v_add_u32_e32 v7, s19, v7
	v_add_u32_e32 v8, s19, v12
	v_lshlrev_b16_e32 v4, 8, v4
	v_lshlrev_b16_e32 v2, 8, v2
	v_med3_i32 v7, v7, s11, v22
	v_add_u32_e32 v6, s19, v6
	v_med3_i32 v8, v8, s11, v22
	v_add_u32_e32 v5, s19, v5
	v_or_b32_sdwa v1, v1, v4 dst_sel:DWORD dst_unused:UNUSED_PAD src0_sel:BYTE_0 src1_sel:DWORD
	v_or_b32_sdwa v2, v3, v2 dst_sel:WORD_1 dst_unused:UNUSED_PAD src0_sel:BYTE_0 src1_sel:DWORD
	v_med3_i32 v6, v6, s11, v22
	v_med3_i32 v5, v5, s11, v22
	v_add_u32_e32 v11, s19, v11
	v_add_u32_e32 v12, s19, v16
	v_or_b32_sdwa v4, v1, v2 dst_sel:DWORD dst_unused:UNUSED_PAD src0_sel:WORD_0 src1_sel:DWORD
	v_lshlrev_b16_e32 v1, 8, v8
	v_lshlrev_b16_e32 v2, 8, v7
	v_med3_i32 v11, v11, s11, v22
	v_add_u32_e32 v10, s19, v10
	v_med3_i32 v12, v12, s11, v22
	v_add_u32_e32 v9, s19, v9
	v_or_b32_sdwa v1, v5, v1 dst_sel:DWORD dst_unused:UNUSED_PAD src0_sel:BYTE_0 src1_sel:DWORD
	v_or_b32_sdwa v2, v6, v2 dst_sel:WORD_1 dst_unused:UNUSED_PAD src0_sel:BYTE_0 src1_sel:DWORD
	v_med3_i32 v10, v10, s11, v22
	v_med3_i32 v9, v9, s11, v22
	v_add_u32_e32 v15, s19, v15
	v_add_u32_e32 v16, s19, v23
	v_or_b32_sdwa v3, v1, v2 dst_sel:DWORD dst_unused:UNUSED_PAD src0_sel:WORD_0 src1_sel:DWORD
	v_lshlrev_b16_e32 v1, 8, v12
	v_lshlrev_b16_e32 v2, 8, v11
	v_med3_i32 v15, v15, s11, v22
	v_add_u32_e32 v14, s19, v14
	v_med3_i32 v16, v16, s11, v22
	v_add_u32_e32 v13, s19, v13
	v_or_b32_sdwa v1, v9, v1 dst_sel:DWORD dst_unused:UNUSED_PAD src0_sel:BYTE_0 src1_sel:DWORD
	v_or_b32_sdwa v2, v10, v2 dst_sel:WORD_1 dst_unused:UNUSED_PAD src0_sel:BYTE_0 src1_sel:DWORD
	v_med3_i32 v14, v14, s11, v22
	v_med3_i32 v13, v13, s11, v22
	v_or_b32_sdwa v2, v1, v2 dst_sel:DWORD dst_unused:UNUSED_PAD src0_sel:WORD_0 src1_sel:DWORD
	v_lshlrev_b16_e32 v1, 8, v16
	v_lshlrev_b16_e32 v5, 8, v15
	v_or_b32_sdwa v1, v13, v1 dst_sel:DWORD dst_unused:UNUSED_PAD src0_sel:BYTE_0 src1_sel:DWORD
	v_or_b32_sdwa v5, v14, v5 dst_sel:WORD_1 dst_unused:UNUSED_PAD src0_sel:BYTE_0 src1_sel:DWORD
	v_or_b32_sdwa v1, v1, v5 dst_sel:DWORD dst_unused:UNUSED_PAD src0_sel:WORD_0 src1_sel:DWORD
	global_store_dwordx4 v[17:18], v[1:4], off offset:-7
	v_add_co_u32_e32 v17, vcc, s7, v17
	v_add_u32_e32 v0, s18, v0
	v_addc_co_u32_e32 v18, vcc, 0, v18, vcc
	v_cmp_le_i32_e32 vcc, s6, v0
	s_or_b64 s[0:1], vcc, s[0:1]
	v_add_co_u32_e32 v19, vcc, s8, v19
	v_addc_co_u32_e32 v20, vcc, 0, v20, vcc
	s_andn2_b64 exec, exec, s[0:1]
	s_cbranch_execz .LBB1_151
.LBB1_88:                               ; =>This Inner Loop Header: Depth=1
	global_load_dwordx4 v[13:16], v[19:20], off
	global_load_dwordx4 v[9:12], v[19:20], off offset:16
	global_load_dwordx4 v[1:4], v[19:20], off offset:48
	;; [unrolled: 1-line block ×3, first 2 shown]
	v_bfrev_b32_e32 v23, -2
	s_waitcnt vmcnt(3)
	v_mul_f32_e32 v13, v21, v13
	v_rndne_f32_e32 v24, v13
	v_cmp_nle_f32_e32 vcc, s9, v24
	v_bfrev_b32_e32 v13, -2
	s_and_saveexec_b64 s[2:3], vcc
	s_cbranch_execz .LBB1_92
; %bb.89:                               ;   in Loop: Header=BB1_88 Depth=1
	v_cmp_nge_f32_e32 vcc, s10, v24
	v_bfrev_b32_e32 v13, 1
	s_and_saveexec_b64 s[4:5], vcc
; %bb.90:                               ;   in Loop: Header=BB1_88 Depth=1
	v_cvt_i32_f32_e32 v13, v24
; %bb.91:                               ;   in Loop: Header=BB1_88 Depth=1
	s_or_b64 exec, exec, s[4:5]
.LBB1_92:                               ;   in Loop: Header=BB1_88 Depth=1
	s_or_b64 exec, exec, s[2:3]
	v_mul_f32_e32 v14, v21, v14
	v_rndne_f32_e32 v14, v14
	v_cmp_nle_f32_e32 vcc, s9, v14
	s_and_saveexec_b64 s[2:3], vcc
	s_cbranch_execz .LBB1_96
; %bb.93:                               ;   in Loop: Header=BB1_88 Depth=1
	v_cmp_nge_f32_e32 vcc, s10, v14
	v_bfrev_b32_e32 v23, 1
	s_and_saveexec_b64 s[4:5], vcc
; %bb.94:                               ;   in Loop: Header=BB1_88 Depth=1
	v_cvt_i32_f32_e32 v23, v14
; %bb.95:                               ;   in Loop: Header=BB1_88 Depth=1
	s_or_b64 exec, exec, s[4:5]
.LBB1_96:                               ;   in Loop: Header=BB1_88 Depth=1
	s_or_b64 exec, exec, s[2:3]
	v_mul_f32_e32 v14, v21, v15
	v_rndne_f32_e32 v24, v14
	v_cmp_nle_f32_e32 vcc, s9, v24
	v_bfrev_b32_e32 v15, -2
	v_bfrev_b32_e32 v14, -2
	s_and_saveexec_b64 s[2:3], vcc
	s_cbranch_execz .LBB1_100
; %bb.97:                               ;   in Loop: Header=BB1_88 Depth=1
	v_cmp_nge_f32_e32 vcc, s10, v24
	v_bfrev_b32_e32 v14, 1
	s_and_saveexec_b64 s[4:5], vcc
; %bb.98:                               ;   in Loop: Header=BB1_88 Depth=1
	v_cvt_i32_f32_e32 v14, v24
; %bb.99:                               ;   in Loop: Header=BB1_88 Depth=1
	s_or_b64 exec, exec, s[4:5]
.LBB1_100:                              ;   in Loop: Header=BB1_88 Depth=1
	s_or_b64 exec, exec, s[2:3]
	v_mul_f32_e32 v16, v21, v16
	v_rndne_f32_e32 v16, v16
	v_cmp_nle_f32_e32 vcc, s9, v16
	s_and_saveexec_b64 s[2:3], vcc
	s_cbranch_execz .LBB1_104
; %bb.101:                              ;   in Loop: Header=BB1_88 Depth=1
	v_cmp_nge_f32_e32 vcc, s10, v16
	v_bfrev_b32_e32 v15, 1
	s_and_saveexec_b64 s[4:5], vcc
; %bb.102:                              ;   in Loop: Header=BB1_88 Depth=1
	v_cvt_i32_f32_e32 v15, v16
; %bb.103:                              ;   in Loop: Header=BB1_88 Depth=1
	s_or_b64 exec, exec, s[4:5]
.LBB1_104:                              ;   in Loop: Header=BB1_88 Depth=1
	s_or_b64 exec, exec, s[2:3]
	s_waitcnt vmcnt(2)
	v_mul_f32_e32 v9, v21, v9
	v_rndne_f32_e32 v24, v9
	v_cmp_nle_f32_e32 vcc, s9, v24
	v_bfrev_b32_e32 v16, -2
	v_bfrev_b32_e32 v9, -2
	s_and_saveexec_b64 s[2:3], vcc
	s_cbranch_execz .LBB1_108
; %bb.105:                              ;   in Loop: Header=BB1_88 Depth=1
	v_cmp_nge_f32_e32 vcc, s10, v24
	v_bfrev_b32_e32 v9, 1
	s_and_saveexec_b64 s[4:5], vcc
; %bb.106:                              ;   in Loop: Header=BB1_88 Depth=1
	v_cvt_i32_f32_e32 v9, v24
; %bb.107:                              ;   in Loop: Header=BB1_88 Depth=1
	s_or_b64 exec, exec, s[4:5]
.LBB1_108:                              ;   in Loop: Header=BB1_88 Depth=1
	s_or_b64 exec, exec, s[2:3]
	v_mul_f32_e32 v10, v21, v10
	v_rndne_f32_e32 v10, v10
	v_cmp_nle_f32_e32 vcc, s9, v10
	s_and_saveexec_b64 s[2:3], vcc
	s_cbranch_execz .LBB1_112
; %bb.109:                              ;   in Loop: Header=BB1_88 Depth=1
	v_cmp_nge_f32_e32 vcc, s10, v10
	v_bfrev_b32_e32 v16, 1
	s_and_saveexec_b64 s[4:5], vcc
; %bb.110:                              ;   in Loop: Header=BB1_88 Depth=1
	v_cvt_i32_f32_e32 v16, v10
; %bb.111:                              ;   in Loop: Header=BB1_88 Depth=1
	s_or_b64 exec, exec, s[4:5]
.LBB1_112:                              ;   in Loop: Header=BB1_88 Depth=1
	s_or_b64 exec, exec, s[2:3]
	v_mul_f32_e32 v10, v21, v11
	v_rndne_f32_e32 v24, v10
	v_cmp_nle_f32_e32 vcc, s9, v24
	v_bfrev_b32_e32 v11, -2
	v_bfrev_b32_e32 v10, -2
	s_and_saveexec_b64 s[2:3], vcc
	s_cbranch_execz .LBB1_116
; %bb.113:                              ;   in Loop: Header=BB1_88 Depth=1
	v_cmp_nge_f32_e32 vcc, s10, v24
	v_bfrev_b32_e32 v10, 1
	s_and_saveexec_b64 s[4:5], vcc
; %bb.114:                              ;   in Loop: Header=BB1_88 Depth=1
	v_cvt_i32_f32_e32 v10, v24
; %bb.115:                              ;   in Loop: Header=BB1_88 Depth=1
	s_or_b64 exec, exec, s[4:5]
.LBB1_116:                              ;   in Loop: Header=BB1_88 Depth=1
	s_or_b64 exec, exec, s[2:3]
	v_mul_f32_e32 v12, v21, v12
	v_rndne_f32_e32 v12, v12
	v_cmp_nle_f32_e32 vcc, s9, v12
	s_and_saveexec_b64 s[2:3], vcc
	s_cbranch_execz .LBB1_120
; %bb.117:                              ;   in Loop: Header=BB1_88 Depth=1
	v_cmp_nge_f32_e32 vcc, s10, v12
	v_bfrev_b32_e32 v11, 1
	s_and_saveexec_b64 s[4:5], vcc
; %bb.118:                              ;   in Loop: Header=BB1_88 Depth=1
	v_cvt_i32_f32_e32 v11, v12
; %bb.119:                              ;   in Loop: Header=BB1_88 Depth=1
	s_or_b64 exec, exec, s[4:5]
.LBB1_120:                              ;   in Loop: Header=BB1_88 Depth=1
	s_or_b64 exec, exec, s[2:3]
	s_waitcnt vmcnt(0)
	v_mul_f32_e32 v5, v21, v5
	v_rndne_f32_e32 v24, v5
	v_cmp_nle_f32_e32 vcc, s9, v24
	v_bfrev_b32_e32 v12, -2
	v_bfrev_b32_e32 v5, -2
	s_and_saveexec_b64 s[2:3], vcc
	s_cbranch_execz .LBB1_124
; %bb.121:                              ;   in Loop: Header=BB1_88 Depth=1
	v_cmp_nge_f32_e32 vcc, s10, v24
	v_bfrev_b32_e32 v5, 1
	s_and_saveexec_b64 s[4:5], vcc
; %bb.122:                              ;   in Loop: Header=BB1_88 Depth=1
	v_cvt_i32_f32_e32 v5, v24
; %bb.123:                              ;   in Loop: Header=BB1_88 Depth=1
	s_or_b64 exec, exec, s[4:5]
.LBB1_124:                              ;   in Loop: Header=BB1_88 Depth=1
	s_or_b64 exec, exec, s[2:3]
	v_mul_f32_e32 v6, v21, v6
	v_rndne_f32_e32 v6, v6
	v_cmp_nle_f32_e32 vcc, s9, v6
	s_and_saveexec_b64 s[2:3], vcc
	s_cbranch_execz .LBB1_128
; %bb.125:                              ;   in Loop: Header=BB1_88 Depth=1
	v_cmp_nge_f32_e32 vcc, s10, v6
	v_bfrev_b32_e32 v12, 1
	s_and_saveexec_b64 s[4:5], vcc
; %bb.126:                              ;   in Loop: Header=BB1_88 Depth=1
	v_cvt_i32_f32_e32 v12, v6
; %bb.127:                              ;   in Loop: Header=BB1_88 Depth=1
	s_or_b64 exec, exec, s[4:5]
.LBB1_128:                              ;   in Loop: Header=BB1_88 Depth=1
	s_or_b64 exec, exec, s[2:3]
	v_mul_f32_e32 v6, v21, v7
	v_rndne_f32_e32 v24, v6
	v_cmp_nle_f32_e32 vcc, s9, v24
	v_bfrev_b32_e32 v7, -2
	v_bfrev_b32_e32 v6, -2
	s_and_saveexec_b64 s[2:3], vcc
	s_cbranch_execz .LBB1_132
; %bb.129:                              ;   in Loop: Header=BB1_88 Depth=1
	v_cmp_nge_f32_e32 vcc, s10, v24
	v_bfrev_b32_e32 v6, 1
	s_and_saveexec_b64 s[4:5], vcc
; %bb.130:                              ;   in Loop: Header=BB1_88 Depth=1
	v_cvt_i32_f32_e32 v6, v24
; %bb.131:                              ;   in Loop: Header=BB1_88 Depth=1
	s_or_b64 exec, exec, s[4:5]
.LBB1_132:                              ;   in Loop: Header=BB1_88 Depth=1
	s_or_b64 exec, exec, s[2:3]
	v_mul_f32_e32 v8, v21, v8
	v_rndne_f32_e32 v8, v8
	v_cmp_nle_f32_e32 vcc, s9, v8
	s_and_saveexec_b64 s[2:3], vcc
	s_cbranch_execz .LBB1_136
; %bb.133:                              ;   in Loop: Header=BB1_88 Depth=1
	v_cmp_nge_f32_e32 vcc, s10, v8
	v_bfrev_b32_e32 v7, 1
	s_and_saveexec_b64 s[4:5], vcc
; %bb.134:                              ;   in Loop: Header=BB1_88 Depth=1
	v_cvt_i32_f32_e32 v7, v8
; %bb.135:                              ;   in Loop: Header=BB1_88 Depth=1
	s_or_b64 exec, exec, s[4:5]
.LBB1_136:                              ;   in Loop: Header=BB1_88 Depth=1
	s_or_b64 exec, exec, s[2:3]
	;; [unrolled: 32-line block ×3, first 2 shown]
	v_mul_f32_e32 v2, v21, v3
	v_rndne_f32_e32 v24, v2
	v_cmp_nle_f32_e32 vcc, s9, v24
	v_bfrev_b32_e32 v2, -2
	v_bfrev_b32_e32 v3, -2
	s_and_saveexec_b64 s[2:3], vcc
	s_cbranch_execz .LBB1_148
; %bb.145:                              ;   in Loop: Header=BB1_88 Depth=1
	v_cmp_nge_f32_e32 vcc, s10, v24
	v_bfrev_b32_e32 v3, 1
	s_and_saveexec_b64 s[4:5], vcc
; %bb.146:                              ;   in Loop: Header=BB1_88 Depth=1
	v_cvt_i32_f32_e32 v3, v24
; %bb.147:                              ;   in Loop: Header=BB1_88 Depth=1
	s_or_b64 exec, exec, s[4:5]
.LBB1_148:                              ;   in Loop: Header=BB1_88 Depth=1
	s_or_b64 exec, exec, s[2:3]
	v_mul_f32_e32 v4, v21, v4
	v_rndne_f32_e32 v4, v4
	v_cmp_nle_f32_e32 vcc, s9, v4
	s_and_saveexec_b64 s[2:3], vcc
	s_cbranch_execz .LBB1_87
; %bb.149:                              ;   in Loop: Header=BB1_88 Depth=1
	v_cmp_nge_f32_e32 vcc, s10, v4
	v_bfrev_b32_e32 v2, 1
	s_and_saveexec_b64 s[4:5], vcc
	s_cbranch_execz .LBB1_86
; %bb.150:                              ;   in Loop: Header=BB1_88 Depth=1
	v_cvt_i32_f32_e32 v2, v4
	s_branch .LBB1_86
.LBB1_151:
	s_endpgm
	.section	.rodata,"a",@progbits
	.p2align	6, 0x0
	.amdhsa_kernel _ZN4vllm35static_scaled_int8_azp_quant_kernelIffiEEvPKT_PaPKT0_PKT1_i
		.amdhsa_group_segment_fixed_size 0
		.amdhsa_private_segment_fixed_size 0
		.amdhsa_kernarg_size 296
		.amdhsa_user_sgpr_count 6
		.amdhsa_user_sgpr_private_segment_buffer 1
		.amdhsa_user_sgpr_dispatch_ptr 0
		.amdhsa_user_sgpr_queue_ptr 0
		.amdhsa_user_sgpr_kernarg_segment_ptr 1
		.amdhsa_user_sgpr_dispatch_id 0
		.amdhsa_user_sgpr_flat_scratch_init 0
		.amdhsa_user_sgpr_private_segment_size 0
		.amdhsa_uses_dynamic_stack 0
		.amdhsa_system_sgpr_private_segment_wavefront_offset 0
		.amdhsa_system_sgpr_workgroup_id_x 1
		.amdhsa_system_sgpr_workgroup_id_y 0
		.amdhsa_system_sgpr_workgroup_id_z 0
		.amdhsa_system_sgpr_workgroup_info 0
		.amdhsa_system_vgpr_workitem_id 0
		.amdhsa_next_free_vgpr 26
		.amdhsa_next_free_sgpr 28
		.amdhsa_reserve_vcc 1
		.amdhsa_reserve_flat_scratch 0
		.amdhsa_float_round_mode_32 0
		.amdhsa_float_round_mode_16_64 0
		.amdhsa_float_denorm_mode_32 3
		.amdhsa_float_denorm_mode_16_64 3
		.amdhsa_dx10_clamp 1
		.amdhsa_ieee_mode 1
		.amdhsa_fp16_overflow 0
		.amdhsa_exception_fp_ieee_invalid_op 0
		.amdhsa_exception_fp_denorm_src 0
		.amdhsa_exception_fp_ieee_div_zero 0
		.amdhsa_exception_fp_ieee_overflow 0
		.amdhsa_exception_fp_ieee_underflow 0
		.amdhsa_exception_fp_ieee_inexact 0
		.amdhsa_exception_int_div_zero 0
	.end_amdhsa_kernel
	.section	.text._ZN4vllm35static_scaled_int8_azp_quant_kernelIffiEEvPKT_PaPKT0_PKT1_i,"axG",@progbits,_ZN4vllm35static_scaled_int8_azp_quant_kernelIffiEEvPKT_PaPKT0_PKT1_i,comdat
.Lfunc_end1:
	.size	_ZN4vllm35static_scaled_int8_azp_quant_kernelIffiEEvPKT_PaPKT0_PKT1_i, .Lfunc_end1-_ZN4vllm35static_scaled_int8_azp_quant_kernelIffiEEvPKT_PaPKT0_PKT1_i
                                        ; -- End function
	.set _ZN4vllm35static_scaled_int8_azp_quant_kernelIffiEEvPKT_PaPKT0_PKT1_i.num_vgpr, 26
	.set _ZN4vllm35static_scaled_int8_azp_quant_kernelIffiEEvPKT_PaPKT0_PKT1_i.num_agpr, 0
	.set _ZN4vllm35static_scaled_int8_azp_quant_kernelIffiEEvPKT_PaPKT0_PKT1_i.numbered_sgpr, 28
	.set _ZN4vllm35static_scaled_int8_azp_quant_kernelIffiEEvPKT_PaPKT0_PKT1_i.num_named_barrier, 0
	.set _ZN4vllm35static_scaled_int8_azp_quant_kernelIffiEEvPKT_PaPKT0_PKT1_i.private_seg_size, 0
	.set _ZN4vllm35static_scaled_int8_azp_quant_kernelIffiEEvPKT_PaPKT0_PKT1_i.uses_vcc, 1
	.set _ZN4vllm35static_scaled_int8_azp_quant_kernelIffiEEvPKT_PaPKT0_PKT1_i.uses_flat_scratch, 0
	.set _ZN4vllm35static_scaled_int8_azp_quant_kernelIffiEEvPKT_PaPKT0_PKT1_i.has_dyn_sized_stack, 0
	.set _ZN4vllm35static_scaled_int8_azp_quant_kernelIffiEEvPKT_PaPKT0_PKT1_i.has_recursion, 0
	.set _ZN4vllm35static_scaled_int8_azp_quant_kernelIffiEEvPKT_PaPKT0_PKT1_i.has_indirect_call, 0
	.section	.AMDGPU.csdata,"",@progbits
; Kernel info:
; codeLenInByte = 3392
; TotalNumSgprs: 32
; NumVgprs: 26
; ScratchSize: 0
; MemoryBound: 1
; FloatMode: 240
; IeeeMode: 1
; LDSByteSize: 0 bytes/workgroup (compile time only)
; SGPRBlocks: 3
; VGPRBlocks: 6
; NumSGPRsForWavesPerEU: 32
; NumVGPRsForWavesPerEU: 26
; Occupancy: 9
; WaveLimiterHint : 0
; COMPUTE_PGM_RSRC2:SCRATCH_EN: 0
; COMPUTE_PGM_RSRC2:USER_SGPR: 6
; COMPUTE_PGM_RSRC2:TRAP_HANDLER: 0
; COMPUTE_PGM_RSRC2:TGID_X_EN: 1
; COMPUTE_PGM_RSRC2:TGID_Y_EN: 0
; COMPUTE_PGM_RSRC2:TGID_Z_EN: 0
; COMPUTE_PGM_RSRC2:TIDIG_COMP_CNT: 0
	.section	.text._ZN4vllm31static_scaled_int8_quant_kernelIN3c104HalfEfEEvPKT_PaPKT0_i,"axG",@progbits,_ZN4vllm31static_scaled_int8_quant_kernelIN3c104HalfEfEEvPKT_PaPKT0_i,comdat
	.protected	_ZN4vllm31static_scaled_int8_quant_kernelIN3c104HalfEfEEvPKT_PaPKT0_i ; -- Begin function _ZN4vllm31static_scaled_int8_quant_kernelIN3c104HalfEfEEvPKT_PaPKT0_i
	.globl	_ZN4vllm31static_scaled_int8_quant_kernelIN3c104HalfEfEEvPKT_PaPKT0_i
	.p2align	8
	.type	_ZN4vllm31static_scaled_int8_quant_kernelIN3c104HalfEfEEvPKT_PaPKT0_i,@function
_ZN4vllm31static_scaled_int8_quant_kernelIN3c104HalfEfEEvPKT_PaPKT0_i: ; @_ZN4vllm31static_scaled_int8_quant_kernelIN3c104HalfEfEEvPKT_PaPKT0_i
; %bb.0:
	s_load_dword s22, s[4:5], 0x18
	s_load_dword s2, s[4:5], 0x2c
	s_load_dwordx2 s[0:1], s[4:5], 0x10
	s_load_dwordx4 s[8:11], s[4:5], 0x0
	s_waitcnt lgkmcnt(0)
	s_ashr_i32 s3, s22, 31
	s_mul_i32 s3, s3, s6
	s_load_dword s21, s[0:1], 0x0
	s_mul_hi_u32 s0, s22, s6
	s_add_i32 s5, s0, s3
	s_mul_i32 s4, s22, s6
	s_and_b32 s20, s2, 0xffff
	s_lshl_b64 s[2:3], s[4:5], 1
	s_add_u32 s23, s8, s2
	s_addc_u32 s24, s9, s3
	s_and_b32 s0, s23, 31
	s_mov_b32 s1, 0
	s_cmp_lg_u64 s[0:1], 0
	s_cselect_b64 s[0:1], -1, 0
	s_and_b32 s6, s22, 15
	s_cmp_lg_u32 s6, 0
	s_cselect_b64 s[6:7], -1, 0
	s_or_b64 s[6:7], s[6:7], s[0:1]
	s_mov_b64 s[0:1], -1
	s_and_b64 vcc, exec, s[6:7]
	s_cbranch_vccz .LBB2_21
; %bb.1:
	s_add_u32 s12, s10, s4
	s_addc_u32 s13, s11, s5
	s_sub_i32 s0, 0, s23
	s_bfe_u32 s0, s0, 0x40001
	s_min_i32 s6, s0, s22
	v_cmp_gt_i32_e32 vcc, s6, v0
	s_and_saveexec_b64 s[14:15], vcc
	s_cbranch_execz .LBB2_9
; %bb.2:
	v_add_u32_e32 v1, 1, v0
	v_max_i32_e32 v1, s6, v1
	s_and_b32 s0, s20, 0xffff
	v_sub_u32_e32 v3, v1, v0
	s_cmp_eq_u32 s0, 1
	v_cmp_lt_u32_e32 vcc, 1, v3
	s_cselect_b64 s[0:1], -1, 0
	s_and_b64 s[18:19], vcc, s[0:1]
	s_mov_b64 s[0:1], -1
	v_mov_b32_e32 v1, v0
	s_and_saveexec_b64 s[16:17], s[18:19]
	s_cbranch_execz .LBB2_6
; %bb.3:
	v_and_b32_e32 v4, -2, v3
	s_waitcnt lgkmcnt(0)
	s_mov_b32 s7, s21
	s_mov_b64 s[18:19], 0
	v_mov_b32_e32 v2, 0
	v_mov_b32_e32 v5, s24
	s_mov_b32 s25, 0x42fe0000
	v_mov_b32_e32 v6, 0x42fe0000
	s_mov_b32 s26, 0xc3000000
	v_mov_b32_e32 v7, 0xc3000000
	v_mov_b32_e32 v1, v0
	;; [unrolled: 1-line block ×3, first 2 shown]
.LBB2_4:                                ; =>This Inner Loop Header: Depth=1
	v_lshlrev_b64 v[9:10], 1, v[1:2]
	v_add_u32_e32 v8, -2, v8
	v_add_co_u32_e32 v9, vcc, s23, v9
	v_addc_co_u32_e32 v10, vcc, v5, v10, vcc
	global_load_dword v9, v[9:10], off
	s_waitcnt vmcnt(0)
	v_cvt_f32_f16_e32 v10, v9
	v_cvt_f32_f16_sdwa v9, v9 dst_sel:DWORD dst_unused:UNUSED_PAD src0_sel:WORD_1
	v_div_scale_f32 v11, s[0:1], s21, s21, v10
	v_div_scale_f32 v12, s[0:1], s7, s7, v9
	v_div_scale_f32 v13, vcc, v10, s21, v10
	v_div_scale_f32 v14, s[0:1], v9, s7, v9
	v_rcp_f32_e32 v15, v11
	v_rcp_f32_e32 v16, v12
	v_fma_f32 v17, -v11, v15, 1.0
	v_fmac_f32_e32 v15, v17, v15
	v_fma_f32 v18, -v12, v16, 1.0
	v_fmac_f32_e32 v16, v18, v16
	v_mul_f32_e32 v17, v13, v15
	v_mul_f32_e32 v18, v14, v16
	v_fma_f32 v19, -v11, v17, v13
	v_fma_f32 v20, -v12, v18, v14
	v_fmac_f32_e32 v17, v19, v15
	v_fmac_f32_e32 v18, v20, v16
	v_fma_f32 v11, -v11, v17, v13
	v_fma_f32 v12, -v12, v18, v14
	v_div_fmas_f32 v11, v11, v15, v17
	s_mov_b64 vcc, s[0:1]
	v_div_fmas_f32 v12, v12, v16, v18
	v_div_fixup_f32 v10, v11, s21, v10
	v_rndne_f32_e32 v10, v10
	v_div_fixup_f32 v9, v12, s7, v9
	v_rndne_f32_e32 v9, v9
	v_cmp_nlt_f32_e32 vcc, s25, v10
	v_cndmask_b32_e32 v11, v6, v10, vcc
	v_cmp_nlt_f32_e32 vcc, s25, v9
	v_cndmask_b32_e32 v12, v6, v9, vcc
	v_cmp_ngt_f32_e32 vcc, s26, v10
	v_cndmask_b32_e32 v10, v7, v11, vcc
	v_cmp_ngt_f32_e32 vcc, s26, v9
	v_cndmask_b32_e32 v9, v7, v12, vcc
	v_cvt_i32_f32_e32 v10, v10
	v_cvt_i32_f32_sdwa v9, v9 dst_sel:BYTE_1 dst_unused:UNUSED_PAD src0_sel:DWORD
	v_cmp_eq_u32_e32 vcc, 0, v8
	s_or_b64 s[18:19], vcc, s[18:19]
	v_or_b32_sdwa v9, v10, v9 dst_sel:DWORD dst_unused:UNUSED_PAD src0_sel:BYTE_0 src1_sel:DWORD
	global_store_short v1, v9, s[12:13]
	v_add_u32_e32 v1, 2, v1
	s_andn2_b64 exec, exec, s[18:19]
	s_cbranch_execnz .LBB2_4
; %bb.5:
	s_or_b64 exec, exec, s[18:19]
	v_cmp_ne_u32_e32 vcc, v3, v4
	v_add_u32_e32 v1, v0, v4
	s_orn2_b64 s[0:1], vcc, exec
.LBB2_6:
	s_or_b64 exec, exec, s[16:17]
	s_and_b64 exec, exec, s[0:1]
	s_cbranch_execz .LBB2_9
; %bb.7:
	v_mov_b32_e32 v2, 0
	v_lshlrev_b64 v[3:4], 1, v[1:2]
	s_add_u32 s0, s8, s2
	s_addc_u32 s1, s9, s3
	v_mov_b32_e32 v5, s1
	v_add_co_u32_e32 v3, vcc, s0, v3
	v_addc_co_u32_e32 v4, vcc, v5, v4, vcc
	s_lshl_b32 s7, s20, 1
	s_mov_b64 s[16:17], 0
	v_mov_b32_e32 v5, s13
	s_mov_b32 s18, 0x42fe0000
	v_mov_b32_e32 v6, 0x42fe0000
	s_mov_b32 s19, 0xc3000000
	v_mov_b32_e32 v7, 0xc3000000
.LBB2_8:                                ; =>This Inner Loop Header: Depth=1
	global_load_ushort v8, v[3:4], off
	s_waitcnt vmcnt(0)
	v_cvt_f32_f16_e32 v10, v8
	s_waitcnt lgkmcnt(0)
	v_div_scale_f32 v8, s[0:1], s21, s21, v10
	v_div_scale_f32 v9, vcc, v10, s21, v10
	v_rcp_f32_e32 v11, v8
	v_fma_f32 v12, -v8, v11, 1.0
	v_fmac_f32_e32 v11, v12, v11
	v_mul_f32_e32 v12, v9, v11
	v_fma_f32 v13, -v8, v12, v9
	v_fmac_f32_e32 v12, v13, v11
	v_fma_f32 v8, -v8, v12, v9
	v_div_fmas_f32 v11, v8, v11, v12
	v_add_co_u32_e32 v8, vcc, s12, v1
	v_addc_co_u32_e32 v9, vcc, v5, v2, vcc
	v_add_co_u32_e32 v1, vcc, s20, v1
	v_addc_co_u32_e32 v2, vcc, 0, v2, vcc
	;; [unrolled: 2-line block ×3, first 2 shown]
	v_cmp_le_i32_e32 vcc, s6, v1
	s_or_b64 s[16:17], vcc, s[16:17]
	v_div_fixup_f32 v10, v11, s21, v10
	v_rndne_f32_e32 v10, v10
	v_cmp_nlt_f32_e64 s[0:1], s18, v10
	v_cndmask_b32_e64 v11, v6, v10, s[0:1]
	v_cmp_ngt_f32_e64 s[0:1], s19, v10
	v_cndmask_b32_e64 v10, v7, v11, s[0:1]
	v_cvt_i32_f32_e32 v10, v10
	global_store_byte v[8:9], v10, off
	s_andn2_b64 exec, exec, s[16:17]
	s_cbranch_execnz .LBB2_8
.LBB2_9:
	s_or_b64 exec, exec, s[14:15]
	s_sub_i32 s18, s22, s6
	s_ashr_i32 s0, s18, 31
	s_lshr_b32 s0, s0, 28
	s_add_i32 s0, s18, s0
	s_ashr_i32 s16, s0, 4
	s_ashr_i32 s7, s6, 31
	v_cmp_gt_i32_e32 vcc, s16, v0
	s_and_saveexec_b64 s[0:1], vcc
	s_cbranch_execz .LBB2_12
; %bb.10:
	s_add_u32 s14, s6, s4
	s_addc_u32 s15, s7, s5
	s_add_u32 s14, s10, s14
	v_lshlrev_b32_e32 v1, 4, v0
	s_addc_u32 s15, s11, s15
	v_mov_b32_e32 v2, s15
	v_add_co_u32_e32 v1, vcc, s14, v1
	s_lshl_b32 s17, s20, 4
	s_lshl_b64 s[14:15], s[6:7], 1
	s_add_u32 s14, s8, s14
	v_addc_co_u32_e32 v2, vcc, 0, v2, vcc
	s_addc_u32 s15, s9, s15
	v_add_co_u32_e32 v9, vcc, 7, v1
	s_add_u32 s14, s14, s2
	v_addc_co_u32_e32 v10, vcc, 0, v2, vcc
	v_lshlrev_b32_e32 v1, 5, v0
	s_addc_u32 s15, s15, s3
	v_mov_b32_e32 v2, s15
	v_add_co_u32_e32 v11, vcc, s14, v1
	v_addc_co_u32_e32 v12, vcc, 0, v2, vcc
	s_lshl_b32 s19, s20, 5
	s_mov_b64 s[14:15], 0
	s_mov_b32 s25, 0x42fe0000
	v_mov_b32_e32 v13, 0x42fe0000
	s_mov_b32 s26, 0xc3000000
	v_mov_b32_e32 v14, 0xc3000000
	v_mov_b32_e32 v15, v0
.LBB2_11:                               ; =>This Inner Loop Header: Depth=1
	global_load_dwordx4 v[5:8], v[11:12], off
	global_load_dwordx4 v[1:4], v[11:12], off offset:16
	v_add_u32_e32 v15, s20, v15
	s_waitcnt vmcnt(1)
	v_cvt_f32_f16_e32 v16, v5
	v_cvt_f32_f16_sdwa v5, v5 dst_sel:DWORD dst_unused:UNUSED_PAD src0_sel:WORD_1
	s_waitcnt lgkmcnt(0)
	v_div_scale_f32 v17, s[28:29], s21, s21, v16
	v_rcp_f32_e32 v18, v17
	v_fma_f32 v19, -v17, v18, 1.0
	v_fmac_f32_e32 v18, v19, v18
	v_div_scale_f32 v19, vcc, v16, s21, v16
	v_mul_f32_e32 v20, v19, v18
	v_fma_f32 v21, -v17, v20, v19
	v_fmac_f32_e32 v20, v21, v18
	v_fma_f32 v17, -v17, v20, v19
	v_div_fmas_f32 v17, v17, v18, v20
	v_div_fixup_f32 v16, v17, s21, v16
	v_rndne_f32_e32 v16, v16
	v_cmp_nlt_f32_e32 vcc, s25, v16
	v_cndmask_b32_e32 v17, v13, v16, vcc
	v_cmp_ngt_f32_e32 vcc, s26, v16
	v_cndmask_b32_e32 v16, v14, v17, vcc
	v_div_scale_f32 v17, s[28:29], s21, s21, v5
	v_cvt_i32_f32_e32 v16, v16
	v_rcp_f32_e32 v18, v17
	v_fma_f32 v19, -v17, v18, 1.0
	v_fmac_f32_e32 v18, v19, v18
	v_div_scale_f32 v19, vcc, v5, s21, v5
	v_mul_f32_e32 v20, v19, v18
	v_fma_f32 v21, -v17, v20, v19
	v_fmac_f32_e32 v20, v21, v18
	v_fma_f32 v17, -v17, v20, v19
	v_div_fmas_f32 v17, v17, v18, v20
	v_div_fixup_f32 v5, v17, s21, v5
	v_rndne_f32_e32 v5, v5
	v_cmp_nlt_f32_e32 vcc, s25, v5
	v_cndmask_b32_e32 v17, v13, v5, vcc
	v_cmp_ngt_f32_e32 vcc, s26, v5
	v_cndmask_b32_e32 v5, v14, v17, vcc
	v_cvt_f32_f16_e32 v17, v6
	v_cvt_f32_f16_sdwa v6, v6 dst_sel:DWORD dst_unused:UNUSED_PAD src0_sel:WORD_1
	v_cvt_i32_f32_sdwa v5, v5 dst_sel:BYTE_1 dst_unused:UNUSED_PAD src0_sel:DWORD
	v_div_scale_f32 v18, s[28:29], s21, s21, v17
	v_rcp_f32_e32 v19, v18
	v_fma_f32 v20, -v18, v19, 1.0
	v_fmac_f32_e32 v19, v20, v19
	v_div_scale_f32 v20, vcc, v17, s21, v17
	v_mul_f32_e32 v21, v20, v19
	v_fma_f32 v22, -v18, v21, v20
	v_fmac_f32_e32 v21, v22, v19
	v_fma_f32 v18, -v18, v21, v20
	v_div_fmas_f32 v18, v18, v19, v21
	v_div_fixup_f32 v17, v18, s21, v17
	v_rndne_f32_e32 v17, v17
	v_cmp_nlt_f32_e32 vcc, s25, v17
	v_cndmask_b32_e32 v18, v13, v17, vcc
	v_cmp_ngt_f32_e32 vcc, s26, v17
	v_cndmask_b32_e32 v17, v14, v18, vcc
	v_div_scale_f32 v18, s[28:29], s21, s21, v6
	v_cvt_i32_f32_e32 v17, v17
	v_rcp_f32_e32 v19, v18
	v_fma_f32 v20, -v18, v19, 1.0
	v_fmac_f32_e32 v19, v20, v19
	v_div_scale_f32 v20, vcc, v6, s21, v6
	v_mul_f32_e32 v21, v20, v19
	v_fma_f32 v22, -v18, v21, v20
	v_fmac_f32_e32 v21, v22, v19
	v_fma_f32 v18, -v18, v21, v20
	v_div_fmas_f32 v18, v18, v19, v21
	v_div_fixup_f32 v6, v18, s21, v6
	v_rndne_f32_e32 v6, v6
	v_cmp_nlt_f32_e32 vcc, s25, v6
	v_cndmask_b32_e32 v18, v13, v6, vcc
	v_cmp_ngt_f32_e32 vcc, s26, v6
	v_cndmask_b32_e32 v6, v14, v18, vcc
	v_cvt_f32_f16_e32 v18, v7
	v_cvt_f32_f16_sdwa v7, v7 dst_sel:DWORD dst_unused:UNUSED_PAD src0_sel:WORD_1
	v_cvt_i32_f32_sdwa v6, v6 dst_sel:BYTE_1 dst_unused:UNUSED_PAD src0_sel:DWORD
	v_div_scale_f32 v19, s[28:29], s21, s21, v18
	v_rcp_f32_e32 v20, v19
	v_fma_f32 v21, -v19, v20, 1.0
	v_fmac_f32_e32 v20, v21, v20
	v_div_scale_f32 v21, vcc, v18, s21, v18
	v_mul_f32_e32 v22, v21, v20
	v_fma_f32 v23, -v19, v22, v21
	v_fmac_f32_e32 v22, v23, v20
	v_fma_f32 v19, -v19, v22, v21
	v_div_fmas_f32 v19, v19, v20, v22
	v_div_fixup_f32 v18, v19, s21, v18
	v_rndne_f32_e32 v18, v18
	v_cmp_nlt_f32_e32 vcc, s25, v18
	v_cndmask_b32_e32 v19, v13, v18, vcc
	v_cmp_ngt_f32_e32 vcc, s26, v18
	v_cndmask_b32_e32 v18, v14, v19, vcc
	v_div_scale_f32 v19, s[28:29], s21, s21, v7
	v_cvt_i32_f32_e32 v18, v18
	v_rcp_f32_e32 v20, v19
	v_fma_f32 v21, -v19, v20, 1.0
	v_fmac_f32_e32 v20, v21, v20
	v_div_scale_f32 v21, vcc, v7, s21, v7
	v_mul_f32_e32 v22, v21, v20
	v_fma_f32 v23, -v19, v22, v21
	v_fmac_f32_e32 v22, v23, v20
	v_fma_f32 v19, -v19, v22, v21
	v_div_fmas_f32 v19, v19, v20, v22
	v_div_fixup_f32 v7, v19, s21, v7
	v_rndne_f32_e32 v7, v7
	v_cmp_nlt_f32_e32 vcc, s25, v7
	v_cndmask_b32_e32 v19, v13, v7, vcc
	v_cmp_ngt_f32_e32 vcc, s26, v7
	v_cndmask_b32_e32 v7, v14, v19, vcc
	v_cvt_f32_f16_e32 v19, v8
	v_cvt_f32_f16_sdwa v8, v8 dst_sel:DWORD dst_unused:UNUSED_PAD src0_sel:WORD_1
	v_cvt_i32_f32_sdwa v7, v7 dst_sel:BYTE_1 dst_unused:UNUSED_PAD src0_sel:DWORD
	v_div_scale_f32 v20, s[28:29], s21, s21, v19
	v_rcp_f32_e32 v21, v20
	v_fma_f32 v22, -v20, v21, 1.0
	v_fmac_f32_e32 v21, v22, v21
	v_div_scale_f32 v22, vcc, v19, s21, v19
	v_mul_f32_e32 v23, v22, v21
	v_fma_f32 v24, -v20, v23, v22
	v_fmac_f32_e32 v23, v24, v21
	v_fma_f32 v20, -v20, v23, v22
	v_div_fmas_f32 v20, v20, v21, v23
	v_div_fixup_f32 v19, v20, s21, v19
	v_rndne_f32_e32 v19, v19
	v_cmp_nlt_f32_e32 vcc, s25, v19
	v_cndmask_b32_e32 v20, v13, v19, vcc
	v_cmp_ngt_f32_e32 vcc, s26, v19
	v_cndmask_b32_e32 v19, v14, v20, vcc
	v_div_scale_f32 v20, s[28:29], s21, s21, v8
	v_cvt_i32_f32_e32 v19, v19
	v_rcp_f32_e32 v21, v20
	v_fma_f32 v22, -v20, v21, 1.0
	v_fmac_f32_e32 v21, v22, v21
	v_div_scale_f32 v22, vcc, v8, s21, v8
	v_mul_f32_e32 v23, v22, v21
	v_fma_f32 v24, -v20, v23, v22
	v_fmac_f32_e32 v23, v24, v21
	v_fma_f32 v20, -v20, v23, v22
	v_div_fmas_f32 v20, v20, v21, v23
	v_div_fixup_f32 v8, v20, s21, v8
	v_rndne_f32_e32 v8, v8
	v_cmp_nlt_f32_e32 vcc, s25, v8
	v_cndmask_b32_e32 v20, v13, v8, vcc
	v_cmp_ngt_f32_e32 vcc, s26, v8
	v_cndmask_b32_e32 v8, v14, v20, vcc
	s_waitcnt vmcnt(0)
	v_cvt_f32_f16_e32 v20, v1
	v_cvt_f32_f16_sdwa v1, v1 dst_sel:DWORD dst_unused:UNUSED_PAD src0_sel:WORD_1
	v_cvt_i32_f32_sdwa v8, v8 dst_sel:BYTE_1 dst_unused:UNUSED_PAD src0_sel:DWORD
	v_div_scale_f32 v21, s[28:29], s21, s21, v20
	v_rcp_f32_e32 v22, v21
	v_fma_f32 v23, -v21, v22, 1.0
	v_fmac_f32_e32 v22, v23, v22
	v_div_scale_f32 v23, vcc, v20, s21, v20
	v_mul_f32_e32 v24, v23, v22
	v_fma_f32 v25, -v21, v24, v23
	v_fmac_f32_e32 v24, v25, v22
	v_fma_f32 v21, -v21, v24, v23
	v_div_fmas_f32 v21, v21, v22, v24
	v_div_fixup_f32 v20, v21, s21, v20
	v_rndne_f32_e32 v20, v20
	v_cmp_nlt_f32_e32 vcc, s25, v20
	v_cndmask_b32_e32 v21, v13, v20, vcc
	v_cmp_ngt_f32_e32 vcc, s26, v20
	v_cndmask_b32_e32 v20, v14, v21, vcc
	v_div_scale_f32 v21, s[28:29], s21, s21, v1
	v_cvt_i32_f32_e32 v20, v20
	v_rcp_f32_e32 v22, v21
	v_fma_f32 v23, -v21, v22, 1.0
	v_fmac_f32_e32 v22, v23, v22
	v_div_scale_f32 v23, vcc, v1, s21, v1
	v_mul_f32_e32 v24, v23, v22
	v_fma_f32 v25, -v21, v24, v23
	v_fmac_f32_e32 v24, v25, v22
	v_fma_f32 v21, -v21, v24, v23
	v_div_fmas_f32 v21, v21, v22, v24
	v_div_fixup_f32 v1, v21, s21, v1
	v_rndne_f32_e32 v1, v1
	v_cmp_nlt_f32_e32 vcc, s25, v1
	v_cndmask_b32_e32 v21, v13, v1, vcc
	v_cmp_ngt_f32_e32 vcc, s26, v1
	v_cndmask_b32_e32 v1, v14, v21, vcc
	v_cvt_f32_f16_e32 v21, v2
	v_cvt_f32_f16_sdwa v2, v2 dst_sel:DWORD dst_unused:UNUSED_PAD src0_sel:WORD_1
	v_cvt_i32_f32_sdwa v1, v1 dst_sel:BYTE_1 dst_unused:UNUSED_PAD src0_sel:DWORD
	v_div_scale_f32 v22, s[28:29], s21, s21, v21
	v_or_b32_sdwa v1, v20, v1 dst_sel:DWORD dst_unused:UNUSED_PAD src0_sel:BYTE_0 src1_sel:DWORD
	v_rcp_f32_e32 v23, v22
	v_fma_f32 v24, -v22, v23, 1.0
	v_fmac_f32_e32 v23, v24, v23
	v_div_scale_f32 v24, vcc, v21, s21, v21
	v_mul_f32_e32 v25, v24, v23
	v_fma_f32 v26, -v22, v25, v24
	v_fmac_f32_e32 v25, v26, v23
	v_fma_f32 v22, -v22, v25, v24
	v_div_fmas_f32 v22, v22, v23, v25
	v_div_fixup_f32 v21, v22, s21, v21
	v_rndne_f32_e32 v21, v21
	v_cmp_nlt_f32_e32 vcc, s25, v21
	v_cndmask_b32_e32 v22, v13, v21, vcc
	v_cmp_ngt_f32_e32 vcc, s26, v21
	v_cndmask_b32_e32 v21, v14, v22, vcc
	v_div_scale_f32 v22, s[28:29], s21, s21, v2
	v_cvt_i32_f32_e32 v21, v21
	v_rcp_f32_e32 v23, v22
	v_fma_f32 v24, -v22, v23, 1.0
	v_fmac_f32_e32 v23, v24, v23
	v_div_scale_f32 v24, vcc, v2, s21, v2
	v_mul_f32_e32 v25, v24, v23
	v_fma_f32 v26, -v22, v25, v24
	v_fmac_f32_e32 v25, v26, v23
	v_fma_f32 v22, -v22, v25, v24
	v_div_fmas_f32 v22, v22, v23, v25
	v_div_fixup_f32 v2, v22, s21, v2
	v_rndne_f32_e32 v2, v2
	v_cmp_nlt_f32_e32 vcc, s25, v2
	v_cndmask_b32_e32 v22, v13, v2, vcc
	v_cmp_ngt_f32_e32 vcc, s26, v2
	v_cndmask_b32_e32 v2, v14, v22, vcc
	v_cvt_f32_f16_e32 v22, v3
	v_cvt_f32_f16_sdwa v3, v3 dst_sel:DWORD dst_unused:UNUSED_PAD src0_sel:WORD_1
	v_cvt_i32_f32_sdwa v2, v2 dst_sel:BYTE_1 dst_unused:UNUSED_PAD src0_sel:DWORD
	v_div_scale_f32 v23, s[28:29], s21, s21, v22
	v_or_b32_sdwa v2, v21, v2 dst_sel:WORD_1 dst_unused:UNUSED_PAD src0_sel:BYTE_0 src1_sel:DWORD
	v_rcp_f32_e32 v24, v23
	v_fma_f32 v25, -v23, v24, 1.0
	v_fmac_f32_e32 v24, v25, v24
	v_div_scale_f32 v25, vcc, v22, s21, v22
	v_mul_f32_e32 v26, v25, v24
	v_fma_f32 v27, -v23, v26, v25
	v_fmac_f32_e32 v26, v27, v24
	v_fma_f32 v23, -v23, v26, v25
	v_div_fmas_f32 v23, v23, v24, v26
	v_div_fixup_f32 v22, v23, s21, v22
	v_rndne_f32_e32 v22, v22
	v_cmp_nlt_f32_e32 vcc, s25, v22
	v_cndmask_b32_e32 v23, v13, v22, vcc
	v_cmp_ngt_f32_e32 vcc, s26, v22
	v_cndmask_b32_e32 v22, v14, v23, vcc
	v_div_scale_f32 v23, s[28:29], s21, s21, v3
	v_cvt_i32_f32_e32 v22, v22
	v_rcp_f32_e32 v24, v23
	v_fma_f32 v25, -v23, v24, 1.0
	v_fmac_f32_e32 v24, v25, v24
	v_div_scale_f32 v25, vcc, v3, s21, v3
	v_mul_f32_e32 v26, v25, v24
	v_fma_f32 v27, -v23, v26, v25
	v_fmac_f32_e32 v26, v27, v24
	v_fma_f32 v23, -v23, v26, v25
	v_div_fmas_f32 v23, v23, v24, v26
	v_div_fixup_f32 v3, v23, s21, v3
	v_rndne_f32_e32 v3, v3
	v_cmp_nlt_f32_e32 vcc, s25, v3
	v_cndmask_b32_e32 v23, v13, v3, vcc
	v_cmp_ngt_f32_e32 vcc, s26, v3
	v_cndmask_b32_e32 v3, v14, v23, vcc
	v_cvt_f32_f16_e32 v23, v4
	v_cvt_f32_f16_sdwa v4, v4 dst_sel:DWORD dst_unused:UNUSED_PAD src0_sel:WORD_1
	v_cvt_i32_f32_sdwa v3, v3 dst_sel:BYTE_1 dst_unused:UNUSED_PAD src0_sel:DWORD
	v_div_scale_f32 v24, s[28:29], s21, s21, v23
	v_or_b32_sdwa v3, v22, v3 dst_sel:DWORD dst_unused:UNUSED_PAD src0_sel:BYTE_0 src1_sel:DWORD
	v_rcp_f32_e32 v25, v24
	v_fma_f32 v26, -v24, v25, 1.0
	v_fmac_f32_e32 v25, v26, v25
	v_div_scale_f32 v26, vcc, v23, s21, v23
	v_mul_f32_e32 v27, v26, v25
	v_fma_f32 v28, -v24, v27, v26
	v_fmac_f32_e32 v27, v28, v25
	v_fma_f32 v24, -v24, v27, v26
	v_div_fmas_f32 v24, v24, v25, v27
	v_div_fixup_f32 v23, v24, s21, v23
	v_rndne_f32_e32 v23, v23
	v_cmp_nlt_f32_e32 vcc, s25, v23
	v_cndmask_b32_e32 v24, v13, v23, vcc
	v_cmp_ngt_f32_e32 vcc, s26, v23
	v_cndmask_b32_e32 v23, v14, v24, vcc
	v_div_scale_f32 v24, s[28:29], s21, s21, v4
	v_cvt_i32_f32_e32 v23, v23
	v_rcp_f32_e32 v25, v24
	v_fma_f32 v26, -v24, v25, 1.0
	v_fmac_f32_e32 v25, v26, v25
	v_div_scale_f32 v26, vcc, v4, s21, v4
	v_mul_f32_e32 v27, v26, v25
	v_fma_f32 v28, -v24, v27, v26
	v_fmac_f32_e32 v27, v28, v25
	v_fma_f32 v24, -v24, v27, v26
	v_div_fmas_f32 v24, v24, v25, v27
	v_div_fixup_f32 v4, v24, s21, v4
	v_rndne_f32_e32 v4, v4
	v_cmp_nlt_f32_e32 vcc, s25, v4
	v_cndmask_b32_e32 v24, v13, v4, vcc
	v_cmp_ngt_f32_e32 vcc, s26, v4
	v_cndmask_b32_e32 v4, v14, v24, vcc
	v_cvt_i32_f32_sdwa v4, v4 dst_sel:BYTE_1 dst_unused:UNUSED_PAD src0_sel:DWORD
	v_or_b32_sdwa v4, v23, v4 dst_sel:WORD_1 dst_unused:UNUSED_PAD src0_sel:BYTE_0 src1_sel:DWORD
	v_or_b32_sdwa v4, v3, v4 dst_sel:DWORD dst_unused:UNUSED_PAD src0_sel:WORD_0 src1_sel:DWORD
	v_or_b32_sdwa v3, v1, v2 dst_sel:DWORD dst_unused:UNUSED_PAD src0_sel:WORD_0 src1_sel:DWORD
	v_or_b32_sdwa v1, v18, v7 dst_sel:DWORD dst_unused:UNUSED_PAD src0_sel:BYTE_0 src1_sel:DWORD
	v_or_b32_sdwa v2, v19, v8 dst_sel:WORD_1 dst_unused:UNUSED_PAD src0_sel:BYTE_0 src1_sel:DWORD
	v_or_b32_sdwa v2, v1, v2 dst_sel:DWORD dst_unused:UNUSED_PAD src0_sel:WORD_0 src1_sel:DWORD
	v_or_b32_sdwa v1, v16, v5 dst_sel:DWORD dst_unused:UNUSED_PAD src0_sel:BYTE_0 src1_sel:DWORD
	v_or_b32_sdwa v5, v17, v6 dst_sel:WORD_1 dst_unused:UNUSED_PAD src0_sel:BYTE_0 src1_sel:DWORD
	v_or_b32_sdwa v1, v1, v5 dst_sel:DWORD dst_unused:UNUSED_PAD src0_sel:WORD_0 src1_sel:DWORD
	global_store_dwordx4 v[9:10], v[1:4], off offset:-7
	v_add_co_u32_e32 v9, vcc, s17, v9
	v_addc_co_u32_e32 v10, vcc, 0, v10, vcc
	v_add_co_u32_e32 v11, vcc, s19, v11
	v_addc_co_u32_e32 v12, vcc, 0, v12, vcc
	v_cmp_le_i32_e32 vcc, s16, v15
	s_or_b64 s[14:15], vcc, s[14:15]
	s_andn2_b64 exec, exec, s[14:15]
	s_cbranch_execnz .LBB2_11
.LBB2_12:
	s_or_b64 exec, exec, s[0:1]
	v_lshl_add_u32 v1, s16, 4, v0
	v_cmp_gt_i32_e32 vcc, s18, v1
	s_and_saveexec_b64 s[14:15], vcc
	s_cbranch_execz .LBB2_20
; %bb.13:
	s_add_u32 s19, s12, s6
	v_add_u32_e32 v2, 1, v1
	s_addc_u32 s25, s13, s7
	v_max_i32_e32 v2, s18, v2
	s_and_b32 s0, s20, 0xffff
	v_sub_u32_e32 v4, v2, v1
	s_cmp_eq_u32 s0, 1
	v_cmp_lt_u32_e32 vcc, 1, v4
	s_cselect_b64 s[0:1], -1, 0
	s_and_b64 s[16:17], vcc, s[0:1]
	s_mov_b64 s[0:1], -1
	s_and_saveexec_b64 s[12:13], s[16:17]
	s_cbranch_execz .LBB2_17
; %bb.14:
	s_lshl_b64 s[0:1], s[6:7], 1
	s_add_u32 s23, s23, s0
	s_addc_u32 s0, s24, s1
	v_and_b32_e32 v5, -2, v4
	s_waitcnt lgkmcnt(0)
	s_mov_b32 s24, s21
	s_mov_b64 s[16:17], 0
	v_mov_b32_e32 v6, s25
	v_mov_b32_e32 v7, s0
	s_mov_b32 s26, 0x42fe0000
	v_mov_b32_e32 v8, 0x42fe0000
	s_mov_b32 s27, 0xc3000000
	v_mov_b32_e32 v9, 0xc3000000
	v_mov_b32_e32 v2, v1
	v_mov_b32_e32 v10, v5
.LBB2_15:                               ; =>This Inner Loop Header: Depth=1
	v_ashrrev_i32_e32 v3, 31, v2
	v_lshlrev_b64 v[11:12], 1, v[2:3]
	v_add_u32_e32 v10, -2, v10
	v_add_co_u32_e32 v11, vcc, s23, v11
	v_addc_co_u32_e32 v12, vcc, v7, v12, vcc
	global_load_dword v11, v[11:12], off
	s_waitcnt vmcnt(0)
	v_cvt_f32_f16_e32 v12, v11
	v_cvt_f32_f16_sdwa v11, v11 dst_sel:DWORD dst_unused:UNUSED_PAD src0_sel:WORD_1
	v_div_scale_f32 v13, s[0:1], s21, s21, v12
	v_div_scale_f32 v14, s[0:1], s24, s24, v11
	v_div_scale_f32 v15, vcc, v12, s21, v12
	v_div_scale_f32 v16, s[0:1], v11, s24, v11
	v_rcp_f32_e32 v17, v13
	v_rcp_f32_e32 v18, v14
	v_fma_f32 v19, -v13, v17, 1.0
	v_fmac_f32_e32 v17, v19, v17
	v_fma_f32 v20, -v14, v18, 1.0
	v_fmac_f32_e32 v18, v20, v18
	v_mul_f32_e32 v19, v15, v17
	v_mul_f32_e32 v20, v16, v18
	v_fma_f32 v21, -v13, v19, v15
	v_fma_f32 v22, -v14, v20, v16
	v_fmac_f32_e32 v19, v21, v17
	v_fmac_f32_e32 v20, v22, v18
	v_fma_f32 v13, -v13, v19, v15
	v_fma_f32 v14, -v14, v20, v16
	v_div_fmas_f32 v13, v13, v17, v19
	s_mov_b64 vcc, s[0:1]
	v_div_fmas_f32 v14, v14, v18, v20
	v_div_fixup_f32 v12, v13, s21, v12
	v_rndne_f32_e32 v12, v12
	v_div_fixup_f32 v11, v14, s24, v11
	v_rndne_f32_e32 v11, v11
	v_cmp_nlt_f32_e32 vcc, s26, v12
	v_cndmask_b32_e32 v13, v8, v12, vcc
	v_cmp_nlt_f32_e32 vcc, s26, v11
	v_cndmask_b32_e32 v14, v8, v11, vcc
	v_cmp_ngt_f32_e32 vcc, s27, v12
	v_cndmask_b32_e32 v12, v9, v13, vcc
	v_cmp_ngt_f32_e32 vcc, s27, v11
	v_cndmask_b32_e32 v11, v9, v14, vcc
	v_cvt_i32_f32_e32 v13, v12
	v_cvt_i32_f32_sdwa v14, v11 dst_sel:BYTE_1 dst_unused:UNUSED_PAD src0_sel:DWORD
	v_add_co_u32_e32 v11, vcc, s19, v2
	v_addc_co_u32_e32 v12, vcc, v6, v3, vcc
	v_cmp_eq_u32_e32 vcc, 0, v10
	s_or_b64 s[16:17], vcc, s[16:17]
	v_or_b32_sdwa v3, v13, v14 dst_sel:DWORD dst_unused:UNUSED_PAD src0_sel:BYTE_0 src1_sel:DWORD
	v_add_u32_e32 v2, 2, v2
	global_store_short v[11:12], v3, off
	s_andn2_b64 exec, exec, s[16:17]
	s_cbranch_execnz .LBB2_15
; %bb.16:
	s_or_b64 exec, exec, s[16:17]
	v_cmp_ne_u32_e32 vcc, v4, v5
	v_add_u32_e32 v1, v1, v5
	s_orn2_b64 s[0:1], vcc, exec
.LBB2_17:
	s_or_b64 exec, exec, s[12:13]
	s_and_b64 exec, exec, s[0:1]
	s_cbranch_execz .LBB2_20
; %bb.18:
	s_lshl_b64 s[0:1], s[6:7], 1
	s_add_u32 s0, s2, s0
	v_ashrrev_i32_e32 v2, 31, v1
	s_addc_u32 s1, s3, s1
	v_lshlrev_b64 v[3:4], 1, v[1:2]
	s_add_u32 s0, s8, s0
	s_addc_u32 s1, s9, s1
	v_mov_b32_e32 v5, s1
	v_add_co_u32_e32 v3, vcc, s0, v3
	v_addc_co_u32_e32 v4, vcc, v5, v4, vcc
	s_lshl_b32 s12, s20, 1
	s_mov_b64 s[6:7], 0
	v_mov_b32_e32 v5, s25
	s_mov_b32 s13, 0x42fe0000
	v_mov_b32_e32 v6, 0x42fe0000
	s_mov_b32 s16, 0xc3000000
	v_mov_b32_e32 v7, 0xc3000000
.LBB2_19:                               ; =>This Inner Loop Header: Depth=1
	global_load_ushort v8, v[3:4], off
	s_waitcnt vmcnt(0)
	v_cvt_f32_f16_e32 v10, v8
	s_waitcnt lgkmcnt(0)
	v_div_scale_f32 v8, s[0:1], s21, s21, v10
	v_div_scale_f32 v9, vcc, v10, s21, v10
	v_rcp_f32_e32 v11, v8
	v_fma_f32 v12, -v8, v11, 1.0
	v_fmac_f32_e32 v11, v12, v11
	v_mul_f32_e32 v12, v9, v11
	v_fma_f32 v13, -v8, v12, v9
	v_fmac_f32_e32 v12, v13, v11
	v_fma_f32 v8, -v8, v12, v9
	v_div_fmas_f32 v11, v8, v11, v12
	v_add_co_u32_e32 v8, vcc, s19, v1
	v_addc_co_u32_e32 v9, vcc, v5, v2, vcc
	v_add_co_u32_e32 v1, vcc, s20, v1
	v_addc_co_u32_e32 v2, vcc, 0, v2, vcc
	;; [unrolled: 2-line block ×3, first 2 shown]
	v_cmp_le_i32_e32 vcc, s18, v1
	s_or_b64 s[6:7], vcc, s[6:7]
	v_div_fixup_f32 v10, v11, s21, v10
	v_rndne_f32_e32 v10, v10
	v_cmp_nlt_f32_e64 s[0:1], s13, v10
	v_cndmask_b32_e64 v11, v6, v10, s[0:1]
	v_cmp_ngt_f32_e64 s[0:1], s16, v10
	v_cndmask_b32_e64 v10, v7, v11, s[0:1]
	v_cvt_i32_f32_e32 v10, v10
	global_store_byte v[8:9], v10, off
	s_andn2_b64 exec, exec, s[6:7]
	s_cbranch_execnz .LBB2_19
.LBB2_20:
	s_or_b64 exec, exec, s[14:15]
	s_mov_b64 s[0:1], 0
.LBB2_21:
	s_and_b64 vcc, exec, s[0:1]
	s_cbranch_vccz .LBB2_25
; %bb.22:
	s_ashr_i32 s6, s22, 4
	v_cmp_gt_i32_e32 vcc, s6, v0
	s_and_saveexec_b64 s[0:1], vcc
	s_cbranch_execz .LBB2_25
; %bb.23:
	s_add_u32 s0, s10, s4
	v_lshlrev_b32_e32 v1, 4, v0
	s_addc_u32 s1, s11, s5
	v_mov_b32_e32 v2, s1
	v_add_co_u32_e32 v1, vcc, s0, v1
	v_addc_co_u32_e32 v2, vcc, 0, v2, vcc
	s_lshl_b32 s4, s20, 4
	v_add_co_u32_e32 v9, vcc, 7, v1
	s_add_u32 s0, s8, s2
	v_addc_co_u32_e32 v10, vcc, 0, v2, vcc
	v_lshlrev_b32_e32 v1, 5, v0
	s_addc_u32 s1, s9, s3
	v_mov_b32_e32 v2, s1
	v_add_co_u32_e32 v11, vcc, s0, v1
	v_addc_co_u32_e32 v12, vcc, 0, v2, vcc
	s_lshl_b32 s2, s20, 5
	s_mov_b64 s[0:1], 0
	s_mov_b32 s3, 0x42fe0000
	v_mov_b32_e32 v13, 0x42fe0000
	s_mov_b32 s5, 0xc3000000
	v_mov_b32_e32 v14, 0xc3000000
.LBB2_24:                               ; =>This Inner Loop Header: Depth=1
	global_load_dwordx4 v[5:8], v[11:12], off
	global_load_dwordx4 v[1:4], v[11:12], off offset:16
	v_add_u32_e32 v0, s20, v0
	s_waitcnt vmcnt(1)
	v_cvt_f32_f16_e32 v15, v5
	v_cvt_f32_f16_sdwa v5, v5 dst_sel:DWORD dst_unused:UNUSED_PAD src0_sel:WORD_1
	s_waitcnt lgkmcnt(0)
	v_div_scale_f32 v16, s[8:9], s21, s21, v15
	v_rcp_f32_e32 v17, v16
	v_fma_f32 v18, -v16, v17, 1.0
	v_fmac_f32_e32 v17, v18, v17
	v_div_scale_f32 v18, vcc, v15, s21, v15
	v_mul_f32_e32 v19, v18, v17
	v_fma_f32 v20, -v16, v19, v18
	v_fmac_f32_e32 v19, v20, v17
	v_fma_f32 v16, -v16, v19, v18
	v_div_fmas_f32 v16, v16, v17, v19
	v_div_fixup_f32 v15, v16, s21, v15
	v_rndne_f32_e32 v15, v15
	v_cmp_nlt_f32_e32 vcc, s3, v15
	v_cndmask_b32_e32 v16, v13, v15, vcc
	v_cmp_ngt_f32_e32 vcc, s5, v15
	v_cndmask_b32_e32 v15, v14, v16, vcc
	v_div_scale_f32 v16, s[8:9], s21, s21, v5
	v_cvt_i32_f32_e32 v15, v15
	v_rcp_f32_e32 v17, v16
	v_fma_f32 v18, -v16, v17, 1.0
	v_fmac_f32_e32 v17, v18, v17
	v_div_scale_f32 v18, vcc, v5, s21, v5
	v_mul_f32_e32 v19, v18, v17
	v_fma_f32 v20, -v16, v19, v18
	v_fmac_f32_e32 v19, v20, v17
	v_fma_f32 v16, -v16, v19, v18
	v_div_fmas_f32 v16, v16, v17, v19
	v_div_fixup_f32 v5, v16, s21, v5
	v_rndne_f32_e32 v5, v5
	v_cmp_nlt_f32_e32 vcc, s3, v5
	v_cndmask_b32_e32 v16, v13, v5, vcc
	v_cmp_ngt_f32_e32 vcc, s5, v5
	v_cndmask_b32_e32 v5, v14, v16, vcc
	v_cvt_f32_f16_e32 v16, v6
	v_cvt_f32_f16_sdwa v6, v6 dst_sel:DWORD dst_unused:UNUSED_PAD src0_sel:WORD_1
	v_cvt_i32_f32_sdwa v5, v5 dst_sel:BYTE_1 dst_unused:UNUSED_PAD src0_sel:DWORD
	v_div_scale_f32 v17, s[8:9], s21, s21, v16
	v_rcp_f32_e32 v18, v17
	v_fma_f32 v19, -v17, v18, 1.0
	v_fmac_f32_e32 v18, v19, v18
	v_div_scale_f32 v19, vcc, v16, s21, v16
	v_mul_f32_e32 v20, v19, v18
	v_fma_f32 v21, -v17, v20, v19
	v_fmac_f32_e32 v20, v21, v18
	v_fma_f32 v17, -v17, v20, v19
	v_div_fmas_f32 v17, v17, v18, v20
	v_div_fixup_f32 v16, v17, s21, v16
	v_rndne_f32_e32 v16, v16
	v_cmp_nlt_f32_e32 vcc, s3, v16
	v_cndmask_b32_e32 v17, v13, v16, vcc
	v_cmp_ngt_f32_e32 vcc, s5, v16
	v_cndmask_b32_e32 v16, v14, v17, vcc
	v_div_scale_f32 v17, s[8:9], s21, s21, v6
	v_cvt_i32_f32_e32 v16, v16
	v_rcp_f32_e32 v18, v17
	v_fma_f32 v19, -v17, v18, 1.0
	v_fmac_f32_e32 v18, v19, v18
	v_div_scale_f32 v19, vcc, v6, s21, v6
	v_mul_f32_e32 v20, v19, v18
	v_fma_f32 v21, -v17, v20, v19
	v_fmac_f32_e32 v20, v21, v18
	v_fma_f32 v17, -v17, v20, v19
	v_div_fmas_f32 v17, v17, v18, v20
	v_div_fixup_f32 v6, v17, s21, v6
	v_rndne_f32_e32 v6, v6
	v_cmp_nlt_f32_e32 vcc, s3, v6
	v_cndmask_b32_e32 v17, v13, v6, vcc
	v_cmp_ngt_f32_e32 vcc, s5, v6
	v_cndmask_b32_e32 v6, v14, v17, vcc
	v_cvt_f32_f16_e32 v17, v7
	v_cvt_f32_f16_sdwa v7, v7 dst_sel:DWORD dst_unused:UNUSED_PAD src0_sel:WORD_1
	v_cvt_i32_f32_sdwa v6, v6 dst_sel:BYTE_1 dst_unused:UNUSED_PAD src0_sel:DWORD
	;; [unrolled: 36-line block ×3, first 2 shown]
	v_div_scale_f32 v19, s[8:9], s21, s21, v18
	v_rcp_f32_e32 v20, v19
	v_fma_f32 v21, -v19, v20, 1.0
	v_fmac_f32_e32 v20, v21, v20
	v_div_scale_f32 v21, vcc, v18, s21, v18
	v_mul_f32_e32 v22, v21, v20
	v_fma_f32 v23, -v19, v22, v21
	v_fmac_f32_e32 v22, v23, v20
	v_fma_f32 v19, -v19, v22, v21
	v_div_fmas_f32 v19, v19, v20, v22
	v_div_fixup_f32 v18, v19, s21, v18
	v_rndne_f32_e32 v18, v18
	v_cmp_nlt_f32_e32 vcc, s3, v18
	v_cndmask_b32_e32 v19, v13, v18, vcc
	v_cmp_ngt_f32_e32 vcc, s5, v18
	v_cndmask_b32_e32 v18, v14, v19, vcc
	v_div_scale_f32 v19, s[8:9], s21, s21, v8
	v_cvt_i32_f32_e32 v18, v18
	v_rcp_f32_e32 v20, v19
	v_fma_f32 v21, -v19, v20, 1.0
	v_fmac_f32_e32 v20, v21, v20
	v_div_scale_f32 v21, vcc, v8, s21, v8
	v_mul_f32_e32 v22, v21, v20
	v_fma_f32 v23, -v19, v22, v21
	v_fmac_f32_e32 v22, v23, v20
	v_fma_f32 v19, -v19, v22, v21
	v_div_fmas_f32 v19, v19, v20, v22
	v_div_fixup_f32 v8, v19, s21, v8
	v_rndne_f32_e32 v8, v8
	v_cmp_nlt_f32_e32 vcc, s3, v8
	v_cndmask_b32_e32 v19, v13, v8, vcc
	v_cmp_ngt_f32_e32 vcc, s5, v8
	v_cndmask_b32_e32 v8, v14, v19, vcc
	s_waitcnt vmcnt(0)
	v_cvt_f32_f16_e32 v19, v1
	v_cvt_f32_f16_sdwa v1, v1 dst_sel:DWORD dst_unused:UNUSED_PAD src0_sel:WORD_1
	v_cvt_i32_f32_sdwa v8, v8 dst_sel:BYTE_1 dst_unused:UNUSED_PAD src0_sel:DWORD
	v_div_scale_f32 v20, s[8:9], s21, s21, v19
	v_rcp_f32_e32 v21, v20
	v_fma_f32 v22, -v20, v21, 1.0
	v_fmac_f32_e32 v21, v22, v21
	v_div_scale_f32 v22, vcc, v19, s21, v19
	v_mul_f32_e32 v23, v22, v21
	v_fma_f32 v24, -v20, v23, v22
	v_fmac_f32_e32 v23, v24, v21
	v_fma_f32 v20, -v20, v23, v22
	v_div_fmas_f32 v20, v20, v21, v23
	v_div_fixup_f32 v19, v20, s21, v19
	v_rndne_f32_e32 v19, v19
	v_cmp_nlt_f32_e32 vcc, s3, v19
	v_cndmask_b32_e32 v20, v13, v19, vcc
	v_cmp_ngt_f32_e32 vcc, s5, v19
	v_cndmask_b32_e32 v19, v14, v20, vcc
	v_div_scale_f32 v20, s[8:9], s21, s21, v1
	v_cvt_i32_f32_e32 v19, v19
	v_rcp_f32_e32 v21, v20
	v_fma_f32 v22, -v20, v21, 1.0
	v_fmac_f32_e32 v21, v22, v21
	v_div_scale_f32 v22, vcc, v1, s21, v1
	v_mul_f32_e32 v23, v22, v21
	v_fma_f32 v24, -v20, v23, v22
	v_fmac_f32_e32 v23, v24, v21
	v_fma_f32 v20, -v20, v23, v22
	v_div_fmas_f32 v20, v20, v21, v23
	v_div_fixup_f32 v1, v20, s21, v1
	v_rndne_f32_e32 v1, v1
	v_cmp_nlt_f32_e32 vcc, s3, v1
	v_cndmask_b32_e32 v20, v13, v1, vcc
	v_cmp_ngt_f32_e32 vcc, s5, v1
	v_cndmask_b32_e32 v1, v14, v20, vcc
	v_cvt_f32_f16_e32 v20, v2
	v_cvt_f32_f16_sdwa v2, v2 dst_sel:DWORD dst_unused:UNUSED_PAD src0_sel:WORD_1
	v_cvt_i32_f32_sdwa v1, v1 dst_sel:BYTE_1 dst_unused:UNUSED_PAD src0_sel:DWORD
	v_div_scale_f32 v21, s[8:9], s21, s21, v20
	v_or_b32_sdwa v1, v19, v1 dst_sel:DWORD dst_unused:UNUSED_PAD src0_sel:BYTE_0 src1_sel:DWORD
	v_rcp_f32_e32 v22, v21
	v_fma_f32 v23, -v21, v22, 1.0
	v_fmac_f32_e32 v22, v23, v22
	v_div_scale_f32 v23, vcc, v20, s21, v20
	v_mul_f32_e32 v24, v23, v22
	v_fma_f32 v25, -v21, v24, v23
	v_fmac_f32_e32 v24, v25, v22
	v_fma_f32 v21, -v21, v24, v23
	v_div_fmas_f32 v21, v21, v22, v24
	v_div_fixup_f32 v20, v21, s21, v20
	v_rndne_f32_e32 v20, v20
	v_cmp_nlt_f32_e32 vcc, s3, v20
	v_cndmask_b32_e32 v21, v13, v20, vcc
	v_cmp_ngt_f32_e32 vcc, s5, v20
	v_cndmask_b32_e32 v20, v14, v21, vcc
	v_div_scale_f32 v21, s[8:9], s21, s21, v2
	v_cvt_i32_f32_e32 v20, v20
	v_rcp_f32_e32 v22, v21
	v_fma_f32 v23, -v21, v22, 1.0
	v_fmac_f32_e32 v22, v23, v22
	v_div_scale_f32 v23, vcc, v2, s21, v2
	v_mul_f32_e32 v24, v23, v22
	v_fma_f32 v25, -v21, v24, v23
	v_fmac_f32_e32 v24, v25, v22
	v_fma_f32 v21, -v21, v24, v23
	v_div_fmas_f32 v21, v21, v22, v24
	v_div_fixup_f32 v2, v21, s21, v2
	v_rndne_f32_e32 v2, v2
	v_cmp_nlt_f32_e32 vcc, s3, v2
	v_cndmask_b32_e32 v21, v13, v2, vcc
	v_cmp_ngt_f32_e32 vcc, s5, v2
	v_cndmask_b32_e32 v2, v14, v21, vcc
	v_cvt_f32_f16_e32 v21, v3
	v_cvt_f32_f16_sdwa v3, v3 dst_sel:DWORD dst_unused:UNUSED_PAD src0_sel:WORD_1
	v_cvt_i32_f32_sdwa v2, v2 dst_sel:BYTE_1 dst_unused:UNUSED_PAD src0_sel:DWORD
	v_div_scale_f32 v22, s[8:9], s21, s21, v21
	v_or_b32_sdwa v2, v20, v2 dst_sel:WORD_1 dst_unused:UNUSED_PAD src0_sel:BYTE_0 src1_sel:DWORD
	v_rcp_f32_e32 v23, v22
	v_fma_f32 v24, -v22, v23, 1.0
	v_fmac_f32_e32 v23, v24, v23
	v_div_scale_f32 v24, vcc, v21, s21, v21
	v_mul_f32_e32 v25, v24, v23
	v_fma_f32 v26, -v22, v25, v24
	v_fmac_f32_e32 v25, v26, v23
	v_fma_f32 v22, -v22, v25, v24
	v_div_fmas_f32 v22, v22, v23, v25
	v_div_fixup_f32 v21, v22, s21, v21
	v_rndne_f32_e32 v21, v21
	v_cmp_nlt_f32_e32 vcc, s3, v21
	v_cndmask_b32_e32 v22, v13, v21, vcc
	v_cmp_ngt_f32_e32 vcc, s5, v21
	v_cndmask_b32_e32 v21, v14, v22, vcc
	v_div_scale_f32 v22, s[8:9], s21, s21, v3
	v_cvt_i32_f32_e32 v21, v21
	v_rcp_f32_e32 v23, v22
	v_fma_f32 v24, -v22, v23, 1.0
	v_fmac_f32_e32 v23, v24, v23
	v_div_scale_f32 v24, vcc, v3, s21, v3
	v_mul_f32_e32 v25, v24, v23
	v_fma_f32 v26, -v22, v25, v24
	v_fmac_f32_e32 v25, v26, v23
	v_fma_f32 v22, -v22, v25, v24
	v_div_fmas_f32 v22, v22, v23, v25
	v_div_fixup_f32 v3, v22, s21, v3
	v_rndne_f32_e32 v3, v3
	v_cmp_nlt_f32_e32 vcc, s3, v3
	v_cndmask_b32_e32 v22, v13, v3, vcc
	v_cmp_ngt_f32_e32 vcc, s5, v3
	v_cndmask_b32_e32 v3, v14, v22, vcc
	v_cvt_f32_f16_e32 v22, v4
	v_cvt_f32_f16_sdwa v4, v4 dst_sel:DWORD dst_unused:UNUSED_PAD src0_sel:WORD_1
	v_cvt_i32_f32_sdwa v3, v3 dst_sel:BYTE_1 dst_unused:UNUSED_PAD src0_sel:DWORD
	v_div_scale_f32 v23, s[8:9], s21, s21, v22
	v_or_b32_sdwa v3, v21, v3 dst_sel:DWORD dst_unused:UNUSED_PAD src0_sel:BYTE_0 src1_sel:DWORD
	v_rcp_f32_e32 v24, v23
	v_fma_f32 v25, -v23, v24, 1.0
	v_fmac_f32_e32 v24, v25, v24
	v_div_scale_f32 v25, vcc, v22, s21, v22
	v_mul_f32_e32 v26, v25, v24
	v_fma_f32 v27, -v23, v26, v25
	v_fmac_f32_e32 v26, v27, v24
	v_fma_f32 v23, -v23, v26, v25
	v_div_fmas_f32 v23, v23, v24, v26
	v_div_fixup_f32 v22, v23, s21, v22
	v_rndne_f32_e32 v22, v22
	v_cmp_nlt_f32_e32 vcc, s3, v22
	v_cndmask_b32_e32 v23, v13, v22, vcc
	v_cmp_ngt_f32_e32 vcc, s5, v22
	v_cndmask_b32_e32 v22, v14, v23, vcc
	v_div_scale_f32 v23, s[8:9], s21, s21, v4
	v_cvt_i32_f32_e32 v22, v22
	v_rcp_f32_e32 v24, v23
	v_fma_f32 v25, -v23, v24, 1.0
	v_fmac_f32_e32 v24, v25, v24
	v_div_scale_f32 v25, vcc, v4, s21, v4
	v_mul_f32_e32 v26, v25, v24
	v_fma_f32 v27, -v23, v26, v25
	v_fmac_f32_e32 v26, v27, v24
	v_fma_f32 v23, -v23, v26, v25
	v_div_fmas_f32 v23, v23, v24, v26
	v_div_fixup_f32 v4, v23, s21, v4
	v_rndne_f32_e32 v4, v4
	v_cmp_nlt_f32_e32 vcc, s3, v4
	v_cndmask_b32_e32 v23, v13, v4, vcc
	v_cmp_ngt_f32_e32 vcc, s5, v4
	v_cndmask_b32_e32 v4, v14, v23, vcc
	v_cvt_i32_f32_sdwa v4, v4 dst_sel:BYTE_1 dst_unused:UNUSED_PAD src0_sel:DWORD
	v_or_b32_sdwa v4, v22, v4 dst_sel:WORD_1 dst_unused:UNUSED_PAD src0_sel:BYTE_0 src1_sel:DWORD
	v_or_b32_sdwa v4, v3, v4 dst_sel:DWORD dst_unused:UNUSED_PAD src0_sel:WORD_0 src1_sel:DWORD
	v_or_b32_sdwa v3, v1, v2 dst_sel:DWORD dst_unused:UNUSED_PAD src0_sel:WORD_0 src1_sel:DWORD
	v_or_b32_sdwa v1, v17, v7 dst_sel:DWORD dst_unused:UNUSED_PAD src0_sel:BYTE_0 src1_sel:DWORD
	v_or_b32_sdwa v2, v18, v8 dst_sel:WORD_1 dst_unused:UNUSED_PAD src0_sel:BYTE_0 src1_sel:DWORD
	v_or_b32_sdwa v2, v1, v2 dst_sel:DWORD dst_unused:UNUSED_PAD src0_sel:WORD_0 src1_sel:DWORD
	v_or_b32_sdwa v1, v15, v5 dst_sel:DWORD dst_unused:UNUSED_PAD src0_sel:BYTE_0 src1_sel:DWORD
	v_or_b32_sdwa v5, v16, v6 dst_sel:WORD_1 dst_unused:UNUSED_PAD src0_sel:BYTE_0 src1_sel:DWORD
	v_or_b32_sdwa v1, v1, v5 dst_sel:DWORD dst_unused:UNUSED_PAD src0_sel:WORD_0 src1_sel:DWORD
	global_store_dwordx4 v[9:10], v[1:4], off offset:-7
	v_add_co_u32_e32 v9, vcc, s4, v9
	v_addc_co_u32_e32 v10, vcc, 0, v10, vcc
	v_add_co_u32_e32 v11, vcc, s2, v11
	v_addc_co_u32_e32 v12, vcc, 0, v12, vcc
	v_cmp_le_i32_e32 vcc, s6, v0
	s_or_b64 s[0:1], vcc, s[0:1]
	s_andn2_b64 exec, exec, s[0:1]
	s_cbranch_execnz .LBB2_24
.LBB2_25:
	s_endpgm
	.section	.rodata,"a",@progbits
	.p2align	6, 0x0
	.amdhsa_kernel _ZN4vllm31static_scaled_int8_quant_kernelIN3c104HalfEfEEvPKT_PaPKT0_i
		.amdhsa_group_segment_fixed_size 0
		.amdhsa_private_segment_fixed_size 0
		.amdhsa_kernarg_size 288
		.amdhsa_user_sgpr_count 6
		.amdhsa_user_sgpr_private_segment_buffer 1
		.amdhsa_user_sgpr_dispatch_ptr 0
		.amdhsa_user_sgpr_queue_ptr 0
		.amdhsa_user_sgpr_kernarg_segment_ptr 1
		.amdhsa_user_sgpr_dispatch_id 0
		.amdhsa_user_sgpr_flat_scratch_init 0
		.amdhsa_user_sgpr_private_segment_size 0
		.amdhsa_uses_dynamic_stack 0
		.amdhsa_system_sgpr_private_segment_wavefront_offset 0
		.amdhsa_system_sgpr_workgroup_id_x 1
		.amdhsa_system_sgpr_workgroup_id_y 0
		.amdhsa_system_sgpr_workgroup_id_z 0
		.amdhsa_system_sgpr_workgroup_info 0
		.amdhsa_system_vgpr_workitem_id 0
		.amdhsa_next_free_vgpr 29
		.amdhsa_next_free_sgpr 30
		.amdhsa_reserve_vcc 1
		.amdhsa_reserve_flat_scratch 0
		.amdhsa_float_round_mode_32 0
		.amdhsa_float_round_mode_16_64 0
		.amdhsa_float_denorm_mode_32 3
		.amdhsa_float_denorm_mode_16_64 3
		.amdhsa_dx10_clamp 1
		.amdhsa_ieee_mode 1
		.amdhsa_fp16_overflow 0
		.amdhsa_exception_fp_ieee_invalid_op 0
		.amdhsa_exception_fp_denorm_src 0
		.amdhsa_exception_fp_ieee_div_zero 0
		.amdhsa_exception_fp_ieee_overflow 0
		.amdhsa_exception_fp_ieee_underflow 0
		.amdhsa_exception_fp_ieee_inexact 0
		.amdhsa_exception_int_div_zero 0
	.end_amdhsa_kernel
	.section	.text._ZN4vllm31static_scaled_int8_quant_kernelIN3c104HalfEfEEvPKT_PaPKT0_i,"axG",@progbits,_ZN4vllm31static_scaled_int8_quant_kernelIN3c104HalfEfEEvPKT_PaPKT0_i,comdat
.Lfunc_end2:
	.size	_ZN4vllm31static_scaled_int8_quant_kernelIN3c104HalfEfEEvPKT_PaPKT0_i, .Lfunc_end2-_ZN4vllm31static_scaled_int8_quant_kernelIN3c104HalfEfEEvPKT_PaPKT0_i
                                        ; -- End function
	.set _ZN4vllm31static_scaled_int8_quant_kernelIN3c104HalfEfEEvPKT_PaPKT0_i.num_vgpr, 29
	.set _ZN4vllm31static_scaled_int8_quant_kernelIN3c104HalfEfEEvPKT_PaPKT0_i.num_agpr, 0
	.set _ZN4vllm31static_scaled_int8_quant_kernelIN3c104HalfEfEEvPKT_PaPKT0_i.numbered_sgpr, 30
	.set _ZN4vllm31static_scaled_int8_quant_kernelIN3c104HalfEfEEvPKT_PaPKT0_i.num_named_barrier, 0
	.set _ZN4vllm31static_scaled_int8_quant_kernelIN3c104HalfEfEEvPKT_PaPKT0_i.private_seg_size, 0
	.set _ZN4vllm31static_scaled_int8_quant_kernelIN3c104HalfEfEEvPKT_PaPKT0_i.uses_vcc, 1
	.set _ZN4vllm31static_scaled_int8_quant_kernelIN3c104HalfEfEEvPKT_PaPKT0_i.uses_flat_scratch, 0
	.set _ZN4vllm31static_scaled_int8_quant_kernelIN3c104HalfEfEEvPKT_PaPKT0_i.has_dyn_sized_stack, 0
	.set _ZN4vllm31static_scaled_int8_quant_kernelIN3c104HalfEfEEvPKT_PaPKT0_i.has_recursion, 0
	.set _ZN4vllm31static_scaled_int8_quant_kernelIN3c104HalfEfEEvPKT_PaPKT0_i.has_indirect_call, 0
	.section	.AMDGPU.csdata,"",@progbits
; Kernel info:
; codeLenInByte = 5552
; TotalNumSgprs: 34
; NumVgprs: 29
; ScratchSize: 0
; MemoryBound: 0
; FloatMode: 240
; IeeeMode: 1
; LDSByteSize: 0 bytes/workgroup (compile time only)
; SGPRBlocks: 4
; VGPRBlocks: 7
; NumSGPRsForWavesPerEU: 34
; NumVGPRsForWavesPerEU: 29
; Occupancy: 8
; WaveLimiterHint : 0
; COMPUTE_PGM_RSRC2:SCRATCH_EN: 0
; COMPUTE_PGM_RSRC2:USER_SGPR: 6
; COMPUTE_PGM_RSRC2:TRAP_HANDLER: 0
; COMPUTE_PGM_RSRC2:TGID_X_EN: 1
; COMPUTE_PGM_RSRC2:TGID_Y_EN: 0
; COMPUTE_PGM_RSRC2:TGID_Z_EN: 0
; COMPUTE_PGM_RSRC2:TIDIG_COMP_CNT: 0
	.section	.text._ZN4vllm35static_scaled_int8_azp_quant_kernelIN3c104HalfEfiEEvPKT_PaPKT0_PKT1_i,"axG",@progbits,_ZN4vllm35static_scaled_int8_azp_quant_kernelIN3c104HalfEfiEEvPKT_PaPKT0_PKT1_i,comdat
	.protected	_ZN4vllm35static_scaled_int8_azp_quant_kernelIN3c104HalfEfiEEvPKT_PaPKT0_PKT1_i ; -- Begin function _ZN4vllm35static_scaled_int8_azp_quant_kernelIN3c104HalfEfiEEvPKT_PaPKT0_PKT1_i
	.globl	_ZN4vllm35static_scaled_int8_azp_quant_kernelIN3c104HalfEfiEEvPKT_PaPKT0_PKT1_i
	.p2align	8
	.type	_ZN4vllm35static_scaled_int8_azp_quant_kernelIN3c104HalfEfiEEvPKT_PaPKT0_PKT1_i,@function
_ZN4vllm35static_scaled_int8_azp_quant_kernelIN3c104HalfEfiEEvPKT_PaPKT0_PKT1_i: ; @_ZN4vllm35static_scaled_int8_azp_quant_kernelIN3c104HalfEfiEEvPKT_PaPKT0_PKT1_i
; %bb.0:
	s_load_dwordx8 s[64:71], s[4:5], 0x0
	s_mov_b32 s3, 0
	s_waitcnt lgkmcnt(0)
	s_load_dword s7, s[68:69], 0x0
	s_load_dword s86, s[4:5], 0x20
	;; [unrolled: 1-line block ×4, first 2 shown]
	s_waitcnt lgkmcnt(0)
	s_ashr_i32 s4, s86, 31
	v_div_scale_f32 v1, s[0:1], s7, s7, 1.0
	v_div_scale_f32 v2, vcc, 1.0, s7, 1.0
	s_and_b32 s33, s2, 0xffff
	s_mul_hi_u32 s2, s86, s6
	s_mul_i32 s4, s4, s6
	s_mul_i32 s70, s86, s6
	s_add_i32 s71, s2, s4
	s_lshl_b64 s[68:69], s[70:71], 1
	s_add_u32 s85, s64, s68
	s_addc_u32 s87, s65, s69
	s_add_u32 s72, s66, s70
	s_addc_u32 s73, s67, s71
	s_and_b32 s2, s85, 31
	s_cmp_lg_u64 s[2:3], 0
	v_rcp_f32_e32 v3, v1
	s_cselect_b64 s[2:3], -1, 0
	s_and_b32 s4, s86, 15
	s_cmp_lg_u32 s4, 0
	v_fma_f32 v4, -v1, v3, 1.0
	v_fmac_f32_e32 v3, v4, v3
	v_mul_f32_e32 v4, v2, v3
	v_fma_f32 v5, -v1, v4, v2
	v_fmac_f32_e32 v4, v5, v3
	v_fma_f32 v1, -v1, v4, v2
	v_div_fmas_f32 v1, v1, v3, v4
	s_cselect_b64 s[4:5], -1, 0
	s_or_b64 s[2:3], s[4:5], s[2:3]
	s_mov_b64 s[0:1], -1
	s_and_b64 vcc, exec, s[2:3]
	v_div_fixup_f32 v15, v1, s7, 1.0
	s_cbranch_vccz .LBB3_98
; %bb.1:
	s_sub_i32 s0, 0, s85
	s_bfe_u32 s0, s0, 0x40001
	s_min_i32 s74, s0, s86
	v_cmp_gt_i32_e32 vcc, s74, v0
	s_and_saveexec_b64 s[0:1], vcc
	s_cbranch_execz .LBB3_13
; %bb.2:
	v_add_u32_e32 v1, 1, v0
	v_max_i32_e32 v1, s74, v1
	s_and_b32 s2, s33, 0xffff
	v_sub_u32_e32 v3, v1, v0
	s_cmp_eq_u32 s2, 1
	v_cmp_lt_u32_e32 vcc, 1, v3
	s_cselect_b64 s[2:3], -1, 0
	s_and_b64 s[6:7], vcc, s[2:3]
	s_mov_b64 s[4:5], -1
	v_mov_b32_e32 v1, v0
	s_and_saveexec_b64 s[2:3], s[6:7]
	s_cbranch_execz .LBB3_6
; %bb.3:
	v_and_b32_e32 v4, -2, v3
	s_mov_b32 s6, s84
	s_mov_b64 s[4:5], 0
	v_mov_b32_e32 v2, 0
	v_mov_b32_e32 v5, s87
	s_mov_b32 s7, 0x4f000000
	s_mov_b32 s8, 0xcf000000
	v_mov_b32_e32 v6, 0xcf000000
	v_bfrev_b32_e32 v7, -2
	s_movk_i32 s9, 0xff80
	v_mov_b32_e32 v8, 0x7f
	v_mov_b32_e32 v1, v0
	;; [unrolled: 1-line block ×3, first 2 shown]
.LBB3_4:                                ; =>This Inner Loop Header: Depth=1
	v_lshlrev_b64 v[10:11], 1, v[1:2]
	v_add_u32_e32 v9, -2, v9
	v_add_co_u32_e32 v10, vcc, s85, v10
	v_addc_co_u32_e32 v11, vcc, v5, v11, vcc
	global_load_dword v10, v[10:11], off
	v_cmp_eq_u32_e32 vcc, 0, v9
	s_or_b64 s[4:5], vcc, s[4:5]
	s_waitcnt vmcnt(0)
	v_cvt_f32_f16_e32 v11, v10
	v_cvt_f32_f16_sdwa v10, v10 dst_sel:DWORD dst_unused:UNUSED_PAD src0_sel:WORD_1
	v_mul_f32_e32 v11, v15, v11
	v_mul_f32_e32 v10, v15, v10
	v_rndne_f32_e32 v10, v10
	v_rndne_f32_e32 v11, v11
	v_cmp_nge_f32_e32 vcc, s8, v10
	v_cndmask_b32_e32 v12, v6, v10, vcc
	v_cmp_nge_f32_e32 vcc, s8, v11
	v_cvt_i32_f32_e32 v12, v12
	v_cndmask_b32_e32 v13, v6, v11, vcc
	v_cvt_i32_f32_e32 v13, v13
	v_cmp_nle_f32_e32 vcc, s7, v10
	v_cndmask_b32_e32 v10, v7, v12, vcc
	v_cmp_nle_f32_e32 vcc, s7, v11
	v_cndmask_b32_e32 v11, v7, v13, vcc
	v_add_u32_e32 v10, s6, v10
	v_add_u32_e32 v11, s84, v11
	v_med3_i32 v10, v10, s9, v8
	v_med3_i32 v11, v11, s9, v8
	v_lshlrev_b16_e32 v10, 8, v10
	v_or_b32_sdwa v10, v11, v10 dst_sel:DWORD dst_unused:UNUSED_PAD src0_sel:BYTE_0 src1_sel:DWORD
	global_store_short v1, v10, s[72:73]
	v_add_u32_e32 v1, 2, v1
	s_andn2_b64 exec, exec, s[4:5]
	s_cbranch_execnz .LBB3_4
; %bb.5:
	s_or_b64 exec, exec, s[4:5]
	v_cmp_ne_u32_e32 vcc, v3, v4
	v_add_u32_e32 v1, v0, v4
	s_orn2_b64 s[4:5], vcc, exec
.LBB3_6:
	s_or_b64 exec, exec, s[2:3]
	s_and_b64 exec, exec, s[4:5]
	s_cbranch_execz .LBB3_13
; %bb.7:
	v_mov_b32_e32 v2, 0
	v_lshlrev_b64 v[2:3], 1, v[1:2]
	s_add_u32 s2, s64, s68
	s_addc_u32 s3, s65, s69
	v_mov_b32_e32 v4, s3
	v_add_co_u32_e32 v2, vcc, s2, v2
	v_addc_co_u32_e32 v3, vcc, v4, v3, vcc
	v_mov_b32_e32 v5, s73
	v_add_co_u32_e32 v4, vcc, s72, v1
	s_lshl_b32 s10, s33, 1
	v_addc_co_u32_e32 v5, vcc, 0, v5, vcc
	s_mov_b64 s[2:3], 0
	s_mov_b32 s11, 0x4f000000
	s_mov_b32 s12, 0xcf000000
	s_movk_i32 s13, 0xff80
	v_mov_b32_e32 v6, 0x7f
	s_mov_b64 s[4:5], 0
	s_branch .LBB3_10
.LBB3_8:                                ;   in Loop: Header=BB3_10 Depth=1
	s_or_b64 exec, exec, s[8:9]
.LBB3_9:                                ;   in Loop: Header=BB3_10 Depth=1
	s_or_b64 exec, exec, s[6:7]
	v_mov_b32_e32 v9, s5
	v_add_co_u32_e32 v8, vcc, s4, v4
	v_add_u32_e32 v7, s84, v7
	v_addc_co_u32_e32 v9, vcc, v5, v9, vcc
	v_med3_i32 v7, v7, s13, v6
	s_add_u32 s4, s4, s33
	global_store_byte v[8:9], v7, off
	v_add_u32_e32 v7, s4, v1
	s_addc_u32 s5, s5, 0
	v_cmp_le_i32_e32 vcc, s74, v7
	s_or_b64 s[2:3], vcc, s[2:3]
	v_add_co_u32_e32 v2, vcc, s10, v2
	v_addc_co_u32_e32 v3, vcc, 0, v3, vcc
	s_andn2_b64 exec, exec, s[2:3]
	s_cbranch_execz .LBB3_13
.LBB3_10:                               ; =>This Inner Loop Header: Depth=1
	global_load_ushort v7, v[2:3], off
	s_waitcnt vmcnt(0)
	v_cvt_f32_f16_e32 v7, v7
	v_mul_f32_e32 v7, v15, v7
	v_rndne_f32_e32 v8, v7
	v_cmp_nle_f32_e32 vcc, s11, v8
	v_bfrev_b32_e32 v7, -2
	s_and_saveexec_b64 s[6:7], vcc
	s_cbranch_execz .LBB3_9
; %bb.11:                               ;   in Loop: Header=BB3_10 Depth=1
	v_cmp_nge_f32_e32 vcc, s12, v8
	v_bfrev_b32_e32 v7, 1
	s_and_saveexec_b64 s[8:9], vcc
	s_cbranch_execz .LBB3_8
; %bb.12:                               ;   in Loop: Header=BB3_10 Depth=1
	v_cvt_i32_f32_e32 v7, v8
	s_branch .LBB3_8
.LBB3_13:
	s_or_b64 exec, exec, s[0:1]
	s_ashr_i32 s75, s74, 31
	s_lshl_b64 s[76:77], s[74:75], 1
	s_add_u32 s89, s85, s76
	s_addc_u32 s81, s87, s77
	s_add_u32 s90, s72, s74
	s_addc_u32 s11, s73, s75
	s_sub_i32 s88, s86, s74
	s_ashr_i32 s0, s88, 31
	s_lshr_b32 s0, s0, 28
	s_add_i32 s0, s88, s0
	s_ashr_i32 s93, s0, 4
	v_cmp_gt_i32_e32 vcc, s93, v0
	s_and_saveexec_b64 s[78:79], vcc
	s_cbranch_execz .LBB3_85
; %bb.14:
	v_add_u32_e32 v1, 1, v0
	v_max_i32_e32 v2, s93, v1
	s_and_b32 s0, s33, 0xffff
	v_sub_u32_e32 v10, v2, v0
	s_cmp_eq_u32 s0, 1
	v_cmp_lt_u32_e32 vcc, 1, v10
	s_cselect_b64 s[0:1], -1, 0
	s_and_b64 s[2:3], vcc, s[0:1]
	s_mov_b64 s[0:1], -1
	v_mov_b32_e32 v9, v0
	s_and_saveexec_b64 s[4:5], s[2:3]
	s_cbranch_execz .LBB3_18
; %bb.15:
                                        ; implicit-def: $vgpr62 : SGPR spill to VGPR lane
	v_and_b32_e32 v11, -2, v10
	v_writelane_b32 v62, s4, 0
	v_mov_b32_e32 v4, v1
	v_writelane_b32 v62, s5, 1
	s_mov_b32 s94, s84
	s_mov_b64 s[82:83], 0
	v_mov_b32_e32 v2, 0
	v_mov_b32_e32 v9, s81
	s_mov_b32 s95, 0x4f000000
	s_mov_b32 s91, 0xcf000000
	v_mov_b32_e32 v12, 0xcf000000
	v_bfrev_b32_e32 v13, -2
	s_movk_i32 s92, 0xff80
	v_mov_b32_e32 v14, 0x7f
	v_mov_b32_e32 v16, s11
	s_mov_b32 s80, 0xc0c0004
	v_mov_b32_e32 v17, v11
	v_mov_b32_e32 v3, v0
	v_writelane_b32 v62, s11, 2
.LBB3_16:                               ; =>This Inner Loop Header: Depth=1
	v_mov_b32_e32 v1, v3
	v_add_u32_e32 v17, -2, v17
	v_lshlrev_b64 v[7:8], 5, v[1:2]
	v_mov_b32_e32 v5, v4
	v_mov_b32_e32 v6, v2
	v_cmp_eq_u32_e32 vcc, 0, v17
	v_lshlrev_b64 v[18:19], 5, v[5:6]
	s_or_b64 s[82:83], vcc, s[82:83]
	v_add_co_u32_e32 v26, vcc, s89, v7
	v_addc_co_u32_e32 v27, vcc, v9, v8, vcc
	v_lshlrev_b64 v[20:21], 4, v[1:2]
	v_add_co_u32_e32 v30, vcc, s89, v18
	v_addc_co_u32_e32 v31, vcc, v9, v19, vcc
	v_lshlrev_b64 v[22:23], 4, v[5:6]
	v_add_co_u32_e32 v5, vcc, s90, v20
	v_addc_co_u32_e32 v6, vcc, v16, v21, vcc
	v_add_co_u32_e32 v7, vcc, s90, v22
	v_addc_co_u32_e32 v8, vcc, v16, v23, vcc
	global_load_dwordx4 v[18:21], v[30:31], off
	global_load_dwordx4 v[22:25], v[26:27], off
	s_nop 0
	global_load_dwordx4 v[26:29], v[26:27], off offset:16
	s_nop 0
	global_load_dwordx4 v[30:33], v[30:31], off offset:16
	v_add_u32_e32 v4, 2, v4
	v_add_u32_e32 v3, 2, v3
	s_waitcnt vmcnt(3)
	v_cvt_f32_f16_e32 v1, v18
	s_waitcnt vmcnt(2)
	v_cvt_f32_f16_e32 v37, v22
	v_cvt_f32_f16_sdwa v22, v22 dst_sel:DWORD dst_unused:UNUSED_PAD src0_sel:WORD_1
	v_cvt_f32_f16_e32 v38, v23
	v_cvt_f32_f16_sdwa v18, v18 dst_sel:DWORD dst_unused:UNUSED_PAD src0_sel:WORD_1
	v_cvt_f32_f16_sdwa v23, v23 dst_sel:DWORD dst_unused:UNUSED_PAD src0_sel:WORD_1
	s_waitcnt vmcnt(1)
	v_cvt_f32_f16_e32 v41, v26
	v_cvt_f32_f16_e32 v39, v24
	v_cvt_f32_f16_sdwa v24, v24 dst_sel:DWORD dst_unused:UNUSED_PAD src0_sel:WORD_1
	v_mul_f32_e32 v22, v15, v22
	v_cvt_f32_f16_e32 v40, v25
	v_mul_f32_e32 v38, v15, v38
	v_rndne_f32_e32 v22, v22
	v_cvt_f32_f16_sdwa v25, v25 dst_sel:DWORD dst_unused:UNUSED_PAD src0_sel:WORD_1
	v_mul_f32_e32 v23, v15, v23
	v_mul_f32_e32 v37, v15, v37
	;; [unrolled: 1-line block ×4, first 2 shown]
	v_rndne_f32_e32 v38, v38
	v_cmp_nge_f32_e32 vcc, s91, v22
	v_mul_f32_e32 v39, v15, v39
	v_mul_f32_e32 v49, v15, v1
	v_rndne_f32_e32 v23, v23
	v_rndne_f32_e32 v1, v37
	;; [unrolled: 1-line block ×4, first 2 shown]
	v_cndmask_b32_e32 v41, v12, v22, vcc
	v_cmp_nge_f32_e32 vcc, s91, v38
	v_mul_f32_e32 v24, v15, v24
	v_rndne_f32_e32 v39, v39
	v_cndmask_b32_e32 v50, v12, v38, vcc
	v_cmp_nge_f32_e32 vcc, s91, v23
	v_cvt_f32_f16_e32 v34, v19
	v_mul_f32_e32 v40, v15, v40
	v_rndne_f32_e32 v24, v24
	v_cndmask_b32_e32 v51, v12, v23, vcc
	v_cmp_nge_f32_e32 vcc, s91, v39
	v_cvt_f32_f16_sdwa v19, v19 dst_sel:DWORD dst_unused:UNUSED_PAD src0_sel:WORD_1
	v_mul_f32_e32 v25, v15, v25
	v_rndne_f32_e32 v40, v40
	v_cndmask_b32_e32 v52, v12, v39, vcc
	v_cmp_nge_f32_e32 vcc, s91, v24
	v_cvt_f32_f16_e32 v35, v20
	v_rndne_f32_e32 v25, v25
	v_cndmask_b32_e32 v53, v12, v24, vcc
	v_cmp_nge_f32_e32 vcc, s91, v40
	v_cvt_f32_f16_sdwa v20, v20 dst_sel:DWORD dst_unused:UNUSED_PAD src0_sel:WORD_1
	v_cndmask_b32_e32 v54, v12, v40, vcc
	v_cmp_nge_f32_e32 vcc, s91, v25
	v_cvt_f32_f16_e32 v36, v21
	v_mul_f32_e32 v34, v15, v34
	v_cndmask_b32_e32 v55, v12, v25, vcc
	v_cmp_nge_f32_e32 vcc, s91, v1
	v_cvt_f32_f16_sdwa v21, v21 dst_sel:DWORD dst_unused:UNUSED_PAD src0_sel:WORD_1
	v_mul_f32_e32 v19, v15, v19
	v_rndne_f32_e32 v34, v34
	v_cndmask_b32_e32 v56, v12, v1, vcc
	v_cmp_nge_f32_e32 vcc, s91, v37
	v_mul_f32_e32 v35, v15, v35
	v_rndne_f32_e32 v19, v19
	v_cndmask_b32_e32 v57, v12, v37, vcc
	v_cmp_nge_f32_e32 vcc, s91, v34
	s_waitcnt vmcnt(0)
	v_cvt_f32_f16_e32 v45, v30
	v_mul_f32_e32 v20, v15, v20
	v_rndne_f32_e32 v35, v35
	v_cndmask_b32_e32 v58, v12, v34, vcc
	v_cmp_nge_f32_e32 vcc, s91, v19
	v_cvt_f32_f16_sdwa v26, v26 dst_sel:DWORD dst_unused:UNUSED_PAD src0_sel:WORD_1
	v_mul_f32_e32 v36, v15, v36
	v_rndne_f32_e32 v20, v20
	v_cndmask_b32_e32 v59, v12, v19, vcc
	v_cmp_nge_f32_e32 vcc, s91, v35
	v_cvt_f32_f16_sdwa v30, v30 dst_sel:DWORD dst_unused:UNUSED_PAD src0_sel:WORD_1
	v_mul_f32_e32 v21, v15, v21
	v_rndne_f32_e32 v36, v36
	v_cndmask_b32_e32 v60, v12, v35, vcc
	v_cmp_nge_f32_e32 vcc, s91, v20
	v_cvt_f32_f16_e32 v42, v27
	v_rndne_f32_e32 v21, v21
	v_cndmask_b32_e32 v61, v12, v20, vcc
	v_cmp_nge_f32_e32 vcc, s91, v36
	v_cvt_f32_f16_e32 v46, v31
	v_mul_f32_e32 v45, v15, v45
	v_rndne_f32_e32 v49, v49
	v_cmp_nle_f32_e64 s[2:3], s95, v22
	v_cndmask_b32_e32 v22, v12, v36, vcc
	v_cmp_nge_f32_e32 vcc, s91, v21
	v_cvt_f32_f16_sdwa v27, v27 dst_sel:DWORD dst_unused:UNUSED_PAD src0_sel:WORD_1
	v_mul_f32_e32 v26, v15, v26
	v_rndne_f32_e32 v45, v45
	v_cmp_nle_f32_e64 s[4:5], s95, v38
	v_cndmask_b32_e32 v38, v12, v21, vcc
	v_cmp_nge_f32_e32 vcc, s91, v49
	v_cvt_f32_f16_sdwa v31, v31 dst_sel:DWORD dst_unused:UNUSED_PAD src0_sel:WORD_1
	v_mul_f32_e32 v30, v15, v30
	v_rndne_f32_e32 v26, v26
	v_cmp_nle_f32_e64 s[6:7], s95, v23
	v_cndmask_b32_e32 v23, v12, v49, vcc
	v_cmp_nge_f32_e32 vcc, s91, v45
	v_cvt_f32_f16_e32 v43, v28
	v_mul_f32_e32 v42, v15, v42
	v_rndne_f32_e32 v30, v30
	v_cmp_nle_f32_e64 s[8:9], s95, v39
	v_cndmask_b32_e32 v39, v12, v45, vcc
	v_cmp_nge_f32_e32 vcc, s91, v26
	v_cvt_f32_f16_e32 v47, v32
	v_mul_f32_e32 v46, v15, v46
	v_rndne_f32_e32 v42, v42
	v_cmp_nle_f32_e64 s[10:11], s95, v24
	v_cndmask_b32_e32 v24, v12, v26, vcc
	v_cmp_nge_f32_e32 vcc, s91, v30
	v_cvt_f32_f16_sdwa v28, v28 dst_sel:DWORD dst_unused:UNUSED_PAD src0_sel:WORD_1
	v_mul_f32_e32 v27, v15, v27
	v_rndne_f32_e32 v46, v46
	v_cmp_nle_f32_e64 s[12:13], s95, v40
	v_cndmask_b32_e32 v40, v12, v30, vcc
	v_cmp_nge_f32_e32 vcc, s91, v42
	v_cvt_f32_f16_sdwa v32, v32 dst_sel:DWORD dst_unused:UNUSED_PAD src0_sel:WORD_1
	v_mul_f32_e32 v31, v15, v31
	v_rndne_f32_e32 v27, v27
	v_cmp_nle_f32_e64 s[14:15], s95, v25
	v_cndmask_b32_e32 v25, v12, v42, vcc
	v_cmp_nge_f32_e32 vcc, s91, v46
	v_cvt_f32_f16_e32 v48, v33
	v_mul_f32_e32 v43, v15, v43
	v_rndne_f32_e32 v31, v31
	v_cmp_nle_f32_e64 s[16:17], s95, v37
	v_cndmask_b32_e32 v37, v12, v46, vcc
	v_cmp_nge_f32_e32 vcc, s91, v27
	v_cvt_f32_f16_e32 v44, v29
	v_mul_f32_e32 v47, v15, v47
	v_rndne_f32_e32 v43, v43
	v_cmp_nle_f32_e64 s[18:19], s95, v34
	v_cndmask_b32_e32 v34, v12, v27, vcc
	v_cmp_nge_f32_e32 vcc, s91, v31
	v_cvt_f32_f16_sdwa v33, v33 dst_sel:DWORD dst_unused:UNUSED_PAD src0_sel:WORD_1
	v_mul_f32_e32 v28, v15, v28
	v_rndne_f32_e32 v47, v47
	v_cmp_nle_f32_e64 s[20:21], s95, v19
	v_cndmask_b32_e32 v19, v12, v31, vcc
	v_cmp_nge_f32_e32 vcc, s91, v43
	v_cvt_f32_f16_sdwa v29, v29 dst_sel:DWORD dst_unused:UNUSED_PAD src0_sel:WORD_1
	v_mul_f32_e32 v32, v15, v32
	v_rndne_f32_e32 v28, v28
	v_cmp_nle_f32_e64 s[22:23], s95, v35
	v_cndmask_b32_e32 v35, v12, v43, vcc
	v_cmp_nge_f32_e32 vcc, s91, v47
	v_mul_f32_e32 v48, v15, v48
	v_rndne_f32_e32 v32, v32
	v_cmp_nle_f32_e64 s[24:25], s95, v20
	v_cndmask_b32_e32 v20, v12, v47, vcc
	v_cmp_nge_f32_e32 vcc, s91, v28
	;; [unrolled: 5-line block ×5, first 2 shown]
	v_rndne_f32_e32 v29, v29
	v_cmp_nle_f32_e64 s[34:35], s95, v45
	v_cndmask_b32_e32 v45, v12, v44, vcc
	v_cmp_nge_f32_e32 vcc, s91, v33
	v_cmp_nle_f32_e64 s[36:37], s95, v26
	v_cndmask_b32_e32 v26, v12, v33, vcc
	v_cmp_nge_f32_e32 vcc, s91, v29
	;; [unrolled: 3-line block ×3, first 2 shown]
	v_cvt_i32_f32_e32 v41, v41
	v_cvt_i32_f32_e32 v50, v50
	;; [unrolled: 1-line block ×3, first 2 shown]
	v_cmp_nle_f32_e64 s[40:41], s95, v42
	v_cndmask_b32_e32 v42, v12, v18, vcc
	v_cvt_i32_f32_e32 v56, v56
	v_cmp_nle_f32_e64 s[44:45], s95, v27
	v_cmp_nle_f32_e64 s[46:47], s95, v31
	v_cvt_i32_f32_e32 v27, v35
	v_cvt_i32_f32_e32 v20, v20
	;; [unrolled: 1-line block ×24, first 2 shown]
	v_cmp_nle_f32_e64 s[52:53], s95, v28
	v_cmp_nle_f32_e64 s[54:55], s95, v32
	v_cvt_i32_f32_e32 v28, v49
	v_cvt_i32_f32_e32 v32, v45
	v_cvt_i32_f32_e32 v30, v30
	v_cmp_nle_f32_e64 s[58:59], s95, v29
	v_cvt_i32_f32_e32 v29, v42
	v_cmp_nle_f32_e64 s[48:49], s95, v43
	v_cmp_nle_f32_e64 s[50:51], s95, v47
	;; [unrolled: 1-line block ×5, first 2 shown]
	v_cmp_nle_f32_e32 vcc, s95, v48
	v_cmp_nle_f32_e64 s[56:57], s95, v44
	v_cmp_nle_f32_e64 s[60:61], s95, v18
	v_cndmask_b32_e64 v1, v13, v56, s[62:63]
	v_cndmask_b32_e64 v18, v13, v41, s[2:3]
	;; [unrolled: 1-line block ×31, first 2 shown]
	v_cndmask_b32_e32 v28, v13, v28, vcc
	v_add_u32_e32 v1, s84, v1
	v_add_u32_e32 v18, s84, v18
	;; [unrolled: 1-line block ×32, first 2 shown]
	v_med3_i32 v1, v1, s92, v14
	v_med3_i32 v18, v18, s92, v14
	;; [unrolled: 1-line block ×32, first 2 shown]
	v_perm_b32 v1, v1, v18, s80
	v_perm_b32 v18, v33, v35, s80
	;; [unrolled: 1-line block ×4, first 2 shown]
	v_lshlrev_b16_e32 v20, 8, v26
	v_perm_b32 v33, v36, v41, s80
	v_perm_b32 v35, v42, v43, s80
	;; [unrolled: 1-line block ×11, first 2 shown]
	v_lshl_or_b32 v18, v18, 16, v1
	v_or_b32_sdwa v1, v28, v20 dst_sel:WORD_1 dst_unused:UNUSED_PAD src0_sel:BYTE_0 src1_sel:DWORD
	v_lshl_or_b32 v19, v35, 16, v33
	v_lshl_or_b32 v22, v36, 16, v23
	;; [unrolled: 1-line block ×6, first 2 shown]
	v_or_b32_e32 v25, v31, v1
	global_store_dwordx4 v[5:6], v[18:21], off
	global_store_dwordx4 v[7:8], v[22:25], off
	s_andn2_b64 exec, exec, s[82:83]
	s_cbranch_execnz .LBB3_16
; %bb.17:
	s_or_b64 exec, exec, s[82:83]
	v_cmp_ne_u32_e32 vcc, v10, v11
	v_readlane_b32 s4, v62, 0
	v_add_u32_e32 v9, v0, v11
	s_orn2_b64 s[0:1], vcc, exec
	v_readlane_b32 s11, v62, 2
	v_readlane_b32 s5, v62, 1
.LBB3_18:
	s_or_b64 exec, exec, s[4:5]
	s_and_b64 exec, exec, s[0:1]
	s_cbranch_execz .LBB3_85
; %bb.19:
	s_add_u32 s0, s74, s70
	s_addc_u32 s1, s75, s71
	v_mov_b32_e32 v10, 0
	v_lshlrev_b64 v[1:2], 4, v[9:10]
	s_add_u32 s0, s66, s0
	s_addc_u32 s1, s67, s1
	v_mov_b32_e32 v3, s1
	v_add_co_u32_e32 v1, vcc, s0, v1
	s_lshl_b32 s6, s33, 4
	v_addc_co_u32_e32 v2, vcc, v3, v2, vcc
	s_add_u32 s0, s64, s76
	v_add_co_u32_e32 v11, vcc, 7, v1
	s_addc_u32 s1, s65, s77
	v_addc_co_u32_e32 v12, vcc, 0, v2, vcc
	v_lshlrev_b64 v[1:2], 5, v[9:10]
	s_add_u32 s0, s0, s68
	s_addc_u32 s1, s1, s69
	v_mov_b32_e32 v3, s1
	v_add_co_u32_e32 v13, vcc, s0, v1
	v_addc_co_u32_e32 v14, vcc, v3, v2, vcc
	s_lshl_b32 s7, s33, 5
	s_mov_b64 s[0:1], 0
	s_mov_b32 s8, 0x4f000000
	s_mov_b32 s9, 0xcf000000
	s_movk_i32 s10, 0xff80
	v_mov_b32_e32 v10, 0x7f
	s_branch .LBB3_22
.LBB3_20:                               ;   in Loop: Header=BB3_22 Depth=1
	s_or_b64 exec, exec, s[4:5]
.LBB3_21:                               ;   in Loop: Header=BB3_22 Depth=1
	s_or_b64 exec, exec, s[2:3]
	v_add_u32_e32 v2, s84, v2
	v_add_u32_e32 v3, s84, v3
	;; [unrolled: 1-line block ×3, first 2 shown]
	v_med3_i32 v2, v2, s10, v10
	v_add_u32_e32 v23, s84, v23
	v_med3_i32 v3, v3, s10, v10
	v_med3_i32 v4, v4, s10, v10
	;; [unrolled: 1-line block ×3, first 2 shown]
	v_add_u32_e32 v1, s84, v1
	v_add_u32_e32 v8, s84, v8
	v_lshlrev_b16_e32 v2, 8, v2
	v_lshlrev_b16_e32 v3, 8, v3
	v_med3_i32 v1, v1, s10, v10
	v_add_u32_e32 v22, s84, v22
	v_med3_i32 v8, v8, s10, v10
	v_add_u32_e32 v21, s84, v21
	v_or_b32_sdwa v2, v23, v2 dst_sel:DWORD dst_unused:UNUSED_PAD src0_sel:BYTE_0 src1_sel:DWORD
	v_or_b32_sdwa v3, v4, v3 dst_sel:WORD_1 dst_unused:UNUSED_PAD src0_sel:BYTE_0 src1_sel:DWORD
	v_med3_i32 v22, v22, s10, v10
	v_med3_i32 v21, v21, s10, v10
	v_add_u32_e32 v7, s84, v7
	v_add_u32_e32 v6, s84, v6
	v_or_b32_sdwa v4, v2, v3 dst_sel:DWORD dst_unused:UNUSED_PAD src0_sel:WORD_0 src1_sel:DWORD
	v_lshlrev_b16_e32 v2, 8, v8
	v_lshlrev_b16_e32 v1, 8, v1
	v_med3_i32 v7, v7, s10, v10
	v_add_u32_e32 v20, s84, v20
	v_med3_i32 v6, v6, s10, v10
	v_add_u32_e32 v19, s84, v19
	v_or_b32_sdwa v2, v21, v2 dst_sel:DWORD dst_unused:UNUSED_PAD src0_sel:BYTE_0 src1_sel:DWORD
	v_or_b32_sdwa v1, v22, v1 dst_sel:WORD_1 dst_unused:UNUSED_PAD src0_sel:BYTE_0 src1_sel:DWORD
	v_med3_i32 v20, v20, s10, v10
	v_med3_i32 v19, v19, s10, v10
	v_add_u32_e32 v5, s84, v5
	v_add_u32_e32 v16, s84, v16
	v_or_b32_sdwa v3, v2, v1 dst_sel:DWORD dst_unused:UNUSED_PAD src0_sel:WORD_0 src1_sel:DWORD
	v_lshlrev_b16_e32 v1, 8, v6
	v_lshlrev_b16_e32 v2, 8, v7
	v_med3_i32 v5, v5, s10, v10
	v_add_u32_e32 v18, s84, v18
	v_med3_i32 v16, v16, s10, v10
	v_add_u32_e32 v17, s84, v17
	v_or_b32_sdwa v1, v19, v1 dst_sel:DWORD dst_unused:UNUSED_PAD src0_sel:BYTE_0 src1_sel:DWORD
	v_or_b32_sdwa v2, v20, v2 dst_sel:WORD_1 dst_unused:UNUSED_PAD src0_sel:BYTE_0 src1_sel:DWORD
	v_med3_i32 v18, v18, s10, v10
	v_med3_i32 v17, v17, s10, v10
	v_or_b32_sdwa v2, v1, v2 dst_sel:DWORD dst_unused:UNUSED_PAD src0_sel:WORD_0 src1_sel:DWORD
	v_lshlrev_b16_e32 v1, 8, v16
	v_lshlrev_b16_e32 v5, 8, v5
	v_or_b32_sdwa v1, v17, v1 dst_sel:DWORD dst_unused:UNUSED_PAD src0_sel:BYTE_0 src1_sel:DWORD
	v_or_b32_sdwa v5, v18, v5 dst_sel:WORD_1 dst_unused:UNUSED_PAD src0_sel:BYTE_0 src1_sel:DWORD
	v_or_b32_sdwa v1, v1, v5 dst_sel:DWORD dst_unused:UNUSED_PAD src0_sel:WORD_0 src1_sel:DWORD
	global_store_dwordx4 v[11:12], v[1:4], off offset:-7
	v_add_co_u32_e32 v11, vcc, s6, v11
	v_add_u32_e32 v9, s33, v9
	v_addc_co_u32_e32 v12, vcc, 0, v12, vcc
	v_cmp_le_i32_e32 vcc, s93, v9
	s_or_b64 s[0:1], vcc, s[0:1]
	v_add_co_u32_e32 v13, vcc, s7, v13
	v_addc_co_u32_e32 v14, vcc, 0, v14, vcc
	s_andn2_b64 exec, exec, s[0:1]
	s_cbranch_execz .LBB3_85
.LBB3_22:                               ; =>This Inner Loop Header: Depth=1
	global_load_dwordx4 v[5:8], v[13:14], off
	global_load_dwordx4 v[1:4], v[13:14], off offset:16
	v_bfrev_b32_e32 v16, -2
	s_waitcnt vmcnt(1)
	v_cvt_f32_f16_e32 v17, v5
	v_mul_f32_e32 v17, v15, v17
	v_rndne_f32_e32 v18, v17
	v_cmp_nle_f32_e32 vcc, s8, v18
	v_bfrev_b32_e32 v17, -2
	s_and_saveexec_b64 s[2:3], vcc
	s_cbranch_execz .LBB3_26
; %bb.23:                               ;   in Loop: Header=BB3_22 Depth=1
	v_cmp_nge_f32_e32 vcc, s9, v18
	v_bfrev_b32_e32 v17, 1
	s_and_saveexec_b64 s[4:5], vcc
; %bb.24:                               ;   in Loop: Header=BB3_22 Depth=1
	v_cvt_i32_f32_e32 v17, v18
; %bb.25:                               ;   in Loop: Header=BB3_22 Depth=1
	s_or_b64 exec, exec, s[4:5]
.LBB3_26:                               ;   in Loop: Header=BB3_22 Depth=1
	s_or_b64 exec, exec, s[2:3]
	v_cvt_f32_f16_sdwa v5, v5 dst_sel:DWORD dst_unused:UNUSED_PAD src0_sel:WORD_1
	v_mul_f32_e32 v5, v15, v5
	v_rndne_f32_e32 v5, v5
	v_cmp_nle_f32_e32 vcc, s8, v5
	s_and_saveexec_b64 s[2:3], vcc
	s_cbranch_execz .LBB3_30
; %bb.27:                               ;   in Loop: Header=BB3_22 Depth=1
	v_cmp_nge_f32_e32 vcc, s9, v5
	v_bfrev_b32_e32 v16, 1
	s_and_saveexec_b64 s[4:5], vcc
; %bb.28:                               ;   in Loop: Header=BB3_22 Depth=1
	v_cvt_i32_f32_e32 v16, v5
; %bb.29:                               ;   in Loop: Header=BB3_22 Depth=1
	s_or_b64 exec, exec, s[4:5]
.LBB3_30:                               ;   in Loop: Header=BB3_22 Depth=1
	s_or_b64 exec, exec, s[2:3]
	v_cvt_f32_f16_e32 v18, v6
	v_bfrev_b32_e32 v5, -2
	v_mul_f32_e32 v18, v15, v18
	v_rndne_f32_e32 v19, v18
	v_cmp_nle_f32_e32 vcc, s8, v19
	v_bfrev_b32_e32 v18, -2
	s_and_saveexec_b64 s[2:3], vcc
	s_cbranch_execz .LBB3_34
; %bb.31:                               ;   in Loop: Header=BB3_22 Depth=1
	v_cmp_nge_f32_e32 vcc, s9, v19
	v_bfrev_b32_e32 v18, 1
	s_and_saveexec_b64 s[4:5], vcc
; %bb.32:                               ;   in Loop: Header=BB3_22 Depth=1
	v_cvt_i32_f32_e32 v18, v19
; %bb.33:                               ;   in Loop: Header=BB3_22 Depth=1
	s_or_b64 exec, exec, s[4:5]
.LBB3_34:                               ;   in Loop: Header=BB3_22 Depth=1
	s_or_b64 exec, exec, s[2:3]
	v_cvt_f32_f16_sdwa v6, v6 dst_sel:DWORD dst_unused:UNUSED_PAD src0_sel:WORD_1
	v_mul_f32_e32 v6, v15, v6
	v_rndne_f32_e32 v6, v6
	v_cmp_nle_f32_e32 vcc, s8, v6
	s_and_saveexec_b64 s[2:3], vcc
	s_cbranch_execz .LBB3_38
; %bb.35:                               ;   in Loop: Header=BB3_22 Depth=1
	v_cmp_nge_f32_e32 vcc, s9, v6
	v_bfrev_b32_e32 v5, 1
	s_and_saveexec_b64 s[4:5], vcc
; %bb.36:                               ;   in Loop: Header=BB3_22 Depth=1
	v_cvt_i32_f32_e32 v5, v6
; %bb.37:                               ;   in Loop: Header=BB3_22 Depth=1
	s_or_b64 exec, exec, s[4:5]
.LBB3_38:                               ;   in Loop: Header=BB3_22 Depth=1
	s_or_b64 exec, exec, s[2:3]
	v_cvt_f32_f16_e32 v19, v7
	v_bfrev_b32_e32 v6, -2
	;; [unrolled: 34-line block ×3, first 2 shown]
	v_mul_f32_e32 v20, v15, v20
	v_rndne_f32_e32 v21, v20
	v_cmp_nle_f32_e32 vcc, s8, v21
	v_bfrev_b32_e32 v20, -2
	s_and_saveexec_b64 s[2:3], vcc
	s_cbranch_execz .LBB3_50
; %bb.47:                               ;   in Loop: Header=BB3_22 Depth=1
	v_cmp_nge_f32_e32 vcc, s9, v21
	v_bfrev_b32_e32 v20, 1
	s_and_saveexec_b64 s[4:5], vcc
; %bb.48:                               ;   in Loop: Header=BB3_22 Depth=1
	v_cvt_i32_f32_e32 v20, v21
; %bb.49:                               ;   in Loop: Header=BB3_22 Depth=1
	s_or_b64 exec, exec, s[4:5]
.LBB3_50:                               ;   in Loop: Header=BB3_22 Depth=1
	s_or_b64 exec, exec, s[2:3]
	v_cvt_f32_f16_sdwa v8, v8 dst_sel:DWORD dst_unused:UNUSED_PAD src0_sel:WORD_1
	v_mul_f32_e32 v8, v15, v8
	v_rndne_f32_e32 v8, v8
	v_cmp_nle_f32_e32 vcc, s8, v8
	s_and_saveexec_b64 s[2:3], vcc
	s_cbranch_execz .LBB3_54
; %bb.51:                               ;   in Loop: Header=BB3_22 Depth=1
	v_cmp_nge_f32_e32 vcc, s9, v8
	v_bfrev_b32_e32 v7, 1
	s_and_saveexec_b64 s[4:5], vcc
; %bb.52:                               ;   in Loop: Header=BB3_22 Depth=1
	v_cvt_i32_f32_e32 v7, v8
; %bb.53:                               ;   in Loop: Header=BB3_22 Depth=1
	s_or_b64 exec, exec, s[4:5]
.LBB3_54:                               ;   in Loop: Header=BB3_22 Depth=1
	s_or_b64 exec, exec, s[2:3]
	s_waitcnt vmcnt(0)
	v_cvt_f32_f16_e32 v21, v1
	v_bfrev_b32_e32 v8, -2
	v_mul_f32_e32 v21, v15, v21
	v_rndne_f32_e32 v22, v21
	v_cmp_nle_f32_e32 vcc, s8, v22
	v_bfrev_b32_e32 v21, -2
	s_and_saveexec_b64 s[2:3], vcc
	s_cbranch_execz .LBB3_58
; %bb.55:                               ;   in Loop: Header=BB3_22 Depth=1
	v_cmp_nge_f32_e32 vcc, s9, v22
	v_bfrev_b32_e32 v21, 1
	s_and_saveexec_b64 s[4:5], vcc
; %bb.56:                               ;   in Loop: Header=BB3_22 Depth=1
	v_cvt_i32_f32_e32 v21, v22
; %bb.57:                               ;   in Loop: Header=BB3_22 Depth=1
	s_or_b64 exec, exec, s[4:5]
.LBB3_58:                               ;   in Loop: Header=BB3_22 Depth=1
	s_or_b64 exec, exec, s[2:3]
	v_cvt_f32_f16_sdwa v1, v1 dst_sel:DWORD dst_unused:UNUSED_PAD src0_sel:WORD_1
	v_mul_f32_e32 v1, v15, v1
	v_rndne_f32_e32 v1, v1
	v_cmp_nle_f32_e32 vcc, s8, v1
	s_and_saveexec_b64 s[2:3], vcc
	s_cbranch_execz .LBB3_62
; %bb.59:                               ;   in Loop: Header=BB3_22 Depth=1
	v_cmp_nge_f32_e32 vcc, s9, v1
	v_bfrev_b32_e32 v8, 1
	s_and_saveexec_b64 s[4:5], vcc
; %bb.60:                               ;   in Loop: Header=BB3_22 Depth=1
	v_cvt_i32_f32_e32 v8, v1
; %bb.61:                               ;   in Loop: Header=BB3_22 Depth=1
	s_or_b64 exec, exec, s[4:5]
.LBB3_62:                               ;   in Loop: Header=BB3_22 Depth=1
	s_or_b64 exec, exec, s[2:3]
	v_cvt_f32_f16_e32 v22, v2
	v_bfrev_b32_e32 v1, -2
	v_mul_f32_e32 v22, v15, v22
	v_rndne_f32_e32 v23, v22
	v_cmp_nle_f32_e32 vcc, s8, v23
	v_bfrev_b32_e32 v22, -2
	s_and_saveexec_b64 s[2:3], vcc
	s_cbranch_execz .LBB3_66
; %bb.63:                               ;   in Loop: Header=BB3_22 Depth=1
	v_cmp_nge_f32_e32 vcc, s9, v23
	v_bfrev_b32_e32 v22, 1
	s_and_saveexec_b64 s[4:5], vcc
; %bb.64:                               ;   in Loop: Header=BB3_22 Depth=1
	v_cvt_i32_f32_e32 v22, v23
; %bb.65:                               ;   in Loop: Header=BB3_22 Depth=1
	s_or_b64 exec, exec, s[4:5]
.LBB3_66:                               ;   in Loop: Header=BB3_22 Depth=1
	s_or_b64 exec, exec, s[2:3]
	v_cvt_f32_f16_sdwa v2, v2 dst_sel:DWORD dst_unused:UNUSED_PAD src0_sel:WORD_1
	v_mul_f32_e32 v2, v15, v2
	v_rndne_f32_e32 v2, v2
	v_cmp_nle_f32_e32 vcc, s8, v2
	s_and_saveexec_b64 s[2:3], vcc
	s_cbranch_execz .LBB3_70
; %bb.67:                               ;   in Loop: Header=BB3_22 Depth=1
	v_cmp_nge_f32_e32 vcc, s9, v2
	v_bfrev_b32_e32 v1, 1
	s_and_saveexec_b64 s[4:5], vcc
; %bb.68:                               ;   in Loop: Header=BB3_22 Depth=1
	v_cvt_i32_f32_e32 v1, v2
; %bb.69:                               ;   in Loop: Header=BB3_22 Depth=1
	s_or_b64 exec, exec, s[4:5]
.LBB3_70:                               ;   in Loop: Header=BB3_22 Depth=1
	s_or_b64 exec, exec, s[2:3]
	;; [unrolled: 34-line block ×3, first 2 shown]
	v_cvt_f32_f16_e32 v24, v4
	v_bfrev_b32_e32 v3, -2
	v_mul_f32_e32 v24, v15, v24
	v_rndne_f32_e32 v25, v24
	v_cmp_nle_f32_e32 vcc, s8, v25
	v_bfrev_b32_e32 v24, -2
	s_and_saveexec_b64 s[2:3], vcc
	s_cbranch_execz .LBB3_82
; %bb.79:                               ;   in Loop: Header=BB3_22 Depth=1
	v_cmp_nge_f32_e32 vcc, s9, v25
	v_bfrev_b32_e32 v24, 1
	s_and_saveexec_b64 s[4:5], vcc
; %bb.80:                               ;   in Loop: Header=BB3_22 Depth=1
	v_cvt_i32_f32_e32 v24, v25
; %bb.81:                               ;   in Loop: Header=BB3_22 Depth=1
	s_or_b64 exec, exec, s[4:5]
.LBB3_82:                               ;   in Loop: Header=BB3_22 Depth=1
	s_or_b64 exec, exec, s[2:3]
	v_cvt_f32_f16_sdwa v4, v4 dst_sel:DWORD dst_unused:UNUSED_PAD src0_sel:WORD_1
	v_mul_f32_e32 v4, v15, v4
	v_rndne_f32_e32 v4, v4
	v_cmp_nle_f32_e32 vcc, s8, v4
	s_and_saveexec_b64 s[2:3], vcc
	s_cbranch_execz .LBB3_21
; %bb.83:                               ;   in Loop: Header=BB3_22 Depth=1
	v_cmp_nge_f32_e32 vcc, s9, v4
	v_bfrev_b32_e32 v3, 1
	s_and_saveexec_b64 s[4:5], vcc
	s_cbranch_execz .LBB3_20
; %bb.84:                               ;   in Loop: Header=BB3_22 Depth=1
	v_cvt_i32_f32_e32 v3, v4
	s_branch .LBB3_20
.LBB3_85:
	s_or_b64 exec, exec, s[78:79]
	v_lshl_add_u32 v1, s93, 4, v0
	v_cmp_gt_i32_e32 vcc, s88, v1
	s_and_saveexec_b64 s[0:1], vcc
	s_cbranch_execz .LBB3_97
; %bb.86:
	v_add_u32_e32 v2, 1, v1
	v_max_i32_e32 v2, s88, v2
	s_and_b32 s2, s33, 0xffff
	v_sub_u32_e32 v4, v2, v1
	s_cmp_eq_u32 s2, 1
	v_cmp_lt_u32_e32 vcc, 1, v4
	s_cselect_b64 s[2:3], -1, 0
	s_and_b64 s[6:7], vcc, s[2:3]
	s_mov_b64 s[4:5], -1
	s_and_saveexec_b64 s[2:3], s[6:7]
	s_cbranch_execz .LBB3_90
; %bb.87:
	v_and_b32_e32 v5, -2, v4
	s_mov_b32 s6, s84
	s_mov_b64 s[4:5], 0
	v_mov_b32_e32 v6, s11
	v_mov_b32_e32 v7, s81
	s_mov_b32 s7, 0x4f000000
	s_mov_b32 s8, 0xcf000000
	v_mov_b32_e32 v8, 0xcf000000
	v_bfrev_b32_e32 v9, -2
	s_movk_i32 s9, 0xff80
	v_mov_b32_e32 v10, 0x7f
	v_mov_b32_e32 v2, v1
	;; [unrolled: 1-line block ×3, first 2 shown]
.LBB3_88:                               ; =>This Inner Loop Header: Depth=1
	v_ashrrev_i32_e32 v3, 31, v2
	v_lshlrev_b64 v[12:13], 1, v[2:3]
	v_add_u32_e32 v11, -2, v11
	v_add_co_u32_e32 v12, vcc, s89, v12
	v_addc_co_u32_e32 v13, vcc, v7, v13, vcc
	global_load_dword v14, v[12:13], off
	v_add_co_u32_e32 v12, vcc, s90, v2
	v_addc_co_u32_e32 v13, vcc, v6, v3, vcc
	v_cmp_eq_u32_e32 vcc, 0, v11
	s_or_b64 s[4:5], vcc, s[4:5]
	v_add_u32_e32 v2, 2, v2
	s_waitcnt vmcnt(0)
	v_cvt_f32_f16_e32 v3, v14
	v_cvt_f32_f16_sdwa v14, v14 dst_sel:DWORD dst_unused:UNUSED_PAD src0_sel:WORD_1
	v_mul_f32_e32 v3, v15, v3
	v_mul_f32_e32 v14, v15, v14
	v_rndne_f32_e32 v14, v14
	v_rndne_f32_e32 v3, v3
	v_cmp_nge_f32_e32 vcc, s8, v14
	v_cndmask_b32_e32 v16, v8, v14, vcc
	v_cmp_nge_f32_e32 vcc, s8, v3
	v_cvt_i32_f32_e32 v16, v16
	v_cndmask_b32_e32 v17, v8, v3, vcc
	v_cvt_i32_f32_e32 v17, v17
	v_cmp_nle_f32_e32 vcc, s7, v14
	v_cndmask_b32_e32 v14, v9, v16, vcc
	v_cmp_nle_f32_e32 vcc, s7, v3
	v_cndmask_b32_e32 v3, v9, v17, vcc
	v_add_u32_e32 v14, s6, v14
	v_add_u32_e32 v3, s84, v3
	v_med3_i32 v14, v14, s9, v10
	v_med3_i32 v3, v3, s9, v10
	v_lshlrev_b16_e32 v14, 8, v14
	v_or_b32_sdwa v3, v3, v14 dst_sel:DWORD dst_unused:UNUSED_PAD src0_sel:BYTE_0 src1_sel:DWORD
	global_store_short v[12:13], v3, off
	s_andn2_b64 exec, exec, s[4:5]
	s_cbranch_execnz .LBB3_88
; %bb.89:
	s_or_b64 exec, exec, s[4:5]
	v_cmp_ne_u32_e32 vcc, v4, v5
	v_add_u32_e32 v1, v1, v5
	s_orn2_b64 s[4:5], vcc, exec
.LBB3_90:
	s_or_b64 exec, exec, s[2:3]
	s_and_b64 exec, exec, s[4:5]
	s_cbranch_execz .LBB3_97
; %bb.91:
	s_add_u32 s2, s68, s76
	s_addc_u32 s3, s69, s77
	v_ashrrev_i32_e32 v2, 31, v1
	v_lshlrev_b64 v[3:4], 1, v[1:2]
	s_add_u32 s2, s64, s2
	s_addc_u32 s3, s65, s3
	s_lshl_b32 s10, s33, 1
	v_add_co_u32_e32 v3, vcc, s2, v3
	s_add_u32 s2, s74, s70
	v_mov_b32_e32 v5, s3
	s_addc_u32 s3, s75, s71
	s_add_u32 s2, s66, s2
	v_addc_co_u32_e32 v4, vcc, v5, v4, vcc
	s_addc_u32 s3, s67, s3
	v_mov_b32_e32 v6, s3
	v_add_co_u32_e32 v5, vcc, s2, v1
	v_addc_co_u32_e32 v2, vcc, v6, v2, vcc
	s_mov_b64 s[2:3], 0
	s_mov_b32 s11, 0x4f000000
	s_mov_b32 s12, 0xcf000000
	s_movk_i32 s13, 0xff80
	v_mov_b32_e32 v6, 0x7f
	s_mov_b64 s[4:5], 0
	s_branch .LBB3_94
.LBB3_92:                               ;   in Loop: Header=BB3_94 Depth=1
	s_or_b64 exec, exec, s[8:9]
.LBB3_93:                               ;   in Loop: Header=BB3_94 Depth=1
	s_or_b64 exec, exec, s[6:7]
	v_mov_b32_e32 v9, s5
	v_add_co_u32_e32 v8, vcc, s4, v5
	v_add_u32_e32 v7, s84, v7
	v_addc_co_u32_e32 v9, vcc, v2, v9, vcc
	v_med3_i32 v7, v7, s13, v6
	s_add_u32 s4, s4, s33
	global_store_byte v[8:9], v7, off
	v_add_u32_e32 v7, s4, v1
	s_addc_u32 s5, s5, 0
	v_cmp_le_i32_e32 vcc, s88, v7
	s_or_b64 s[2:3], vcc, s[2:3]
	v_add_co_u32_e32 v3, vcc, s10, v3
	v_addc_co_u32_e32 v4, vcc, 0, v4, vcc
	s_andn2_b64 exec, exec, s[2:3]
	s_cbranch_execz .LBB3_97
.LBB3_94:                               ; =>This Inner Loop Header: Depth=1
	global_load_ushort v7, v[3:4], off
	s_waitcnt vmcnt(0)
	v_cvt_f32_f16_e32 v7, v7
	v_mul_f32_e32 v7, v15, v7
	v_rndne_f32_e32 v8, v7
	v_cmp_nle_f32_e32 vcc, s11, v8
	v_bfrev_b32_e32 v7, -2
	s_and_saveexec_b64 s[6:7], vcc
	s_cbranch_execz .LBB3_93
; %bb.95:                               ;   in Loop: Header=BB3_94 Depth=1
	v_cmp_nge_f32_e32 vcc, s12, v8
	v_bfrev_b32_e32 v7, 1
	s_and_saveexec_b64 s[8:9], vcc
	s_cbranch_execz .LBB3_92
; %bb.96:                               ;   in Loop: Header=BB3_94 Depth=1
	v_cvt_i32_f32_e32 v7, v8
	s_branch .LBB3_92
.LBB3_97:
	s_or_b64 exec, exec, s[0:1]
	s_mov_b64 s[0:1], 0
.LBB3_98:
	s_and_b64 vcc, exec, s[0:1]
	s_cbranch_vccz .LBB3_171
; %bb.99:
	s_ashr_i32 s78, s86, 4
	v_cmp_gt_i32_e32 vcc, s78, v0
	s_and_saveexec_b64 s[0:1], vcc
	s_cbranch_execz .LBB3_171
; %bb.100:
	v_add_u32_e32 v1, 1, v0
	v_max_i32_e32 v2, s78, v1
	s_and_b32 s0, s33, 0xffff
	v_sub_u32_e32 v9, v2, v0
	s_cmp_eq_u32 s0, 1
	v_cmp_lt_u32_e32 vcc, 1, v9
	s_cselect_b64 s[0:1], -1, 0
	s_and_b64 s[2:3], vcc, s[0:1]
	s_mov_b64 s[0:1], -1
	s_and_saveexec_b64 s[74:75], s[2:3]
	s_cbranch_execz .LBB3_104
; %bb.101:
	v_and_b32_e32 v10, -2, v9
	v_mov_b32_e32 v4, v1
	s_mov_b32 s79, s84
	s_mov_b64 s[76:77], 0
	v_mov_b32_e32 v2, 0
	v_mov_b32_e32 v11, s87
	s_mov_b32 s80, 0x4f000000
	s_mov_b32 s81, 0xcf000000
	v_mov_b32_e32 v12, 0xcf000000
	v_bfrev_b32_e32 v13, -2
	s_movk_i32 s82, 0xff80
	v_mov_b32_e32 v14, 0x7f
	v_mov_b32_e32 v16, s73
	s_mov_b32 s73, 0xc0c0004
	v_mov_b32_e32 v17, v10
	v_mov_b32_e32 v3, v0
.LBB3_102:                              ; =>This Inner Loop Header: Depth=1
	v_mov_b32_e32 v1, v3
	v_add_u32_e32 v17, -2, v17
	v_lshlrev_b64 v[7:8], 5, v[1:2]
	v_cmp_eq_u32_e32 vcc, 0, v17
	v_lshlrev_b64 v[18:19], 4, v[1:2]
	s_or_b64 s[76:77], vcc, s[76:77]
	v_add_co_u32_e32 v26, vcc, s85, v7
	v_mov_b32_e32 v5, v4
	v_mov_b32_e32 v6, v2
	v_addc_co_u32_e32 v27, vcc, v11, v8, vcc
	v_lshlrev_b64 v[20:21], 5, v[5:6]
	v_lshlrev_b64 v[22:23], 4, v[5:6]
	v_add_co_u32_e32 v5, vcc, s72, v18
	v_addc_co_u32_e32 v6, vcc, v16, v19, vcc
	v_add_co_u32_e32 v30, vcc, s85, v20
	v_addc_co_u32_e32 v31, vcc, v11, v21, vcc
	;; [unrolled: 2-line block ×3, first 2 shown]
	global_load_dwordx4 v[18:21], v[26:27], off
	global_load_dwordx4 v[22:25], v[26:27], off offset:16
                                        ; kill: killed $vgpr26 killed $vgpr27
	s_nop 0
	global_load_dwordx4 v[26:29], v[30:31], off
	s_nop 0
	global_load_dwordx4 v[30:33], v[30:31], off offset:16
	v_add_u32_e32 v4, 2, v4
	v_add_u32_e32 v3, 2, v3
	s_waitcnt vmcnt(3)
	v_cvt_f32_f16_e32 v1, v18
	v_cvt_f32_f16_sdwa v18, v18 dst_sel:DWORD dst_unused:UNUSED_PAD src0_sel:WORD_1
	v_cvt_f32_f16_e32 v34, v19
	v_cvt_f32_f16_sdwa v19, v19 dst_sel:DWORD dst_unused:UNUSED_PAD src0_sel:WORD_1
	s_waitcnt vmcnt(0)
	v_cvt_f32_f16_e32 v47, v32
	v_cvt_f32_f16_e32 v35, v20
	v_cvt_f32_f16_sdwa v20, v20 dst_sel:DWORD dst_unused:UNUSED_PAD src0_sel:WORD_1
	v_mul_f32_e32 v18, v15, v18
	v_cvt_f32_f16_e32 v36, v21
	v_mul_f32_e32 v34, v15, v34
	v_rndne_f32_e32 v49, v18
	v_cvt_f32_f16_sdwa v21, v21 dst_sel:DWORD dst_unused:UNUSED_PAD src0_sel:WORD_1
	v_mul_f32_e32 v19, v15, v19
	v_mul_f32_e32 v47, v15, v47
	v_rndne_f32_e32 v34, v34
	v_cmp_nge_f32_e32 vcc, s81, v49
	v_mul_f32_e32 v35, v15, v35
	v_rndne_f32_e32 v19, v19
	v_rndne_f32_e32 v18, v47
	v_cndmask_b32_e32 v47, v12, v49, vcc
	v_cmp_nge_f32_e32 vcc, s81, v34
	v_cvt_f32_f16_e32 v37, v22
	v_cvt_f32_f16_sdwa v22, v22 dst_sel:DWORD dst_unused:UNUSED_PAD src0_sel:WORD_1
	v_mul_f32_e32 v20, v15, v20
	v_rndne_f32_e32 v35, v35
	v_cndmask_b32_e32 v50, v12, v34, vcc
	v_cmp_nge_f32_e32 vcc, s81, v19
	v_cvt_f32_f16_e32 v38, v23
	v_mul_f32_e32 v36, v15, v36
	v_rndne_f32_e32 v20, v20
	v_cndmask_b32_e32 v51, v12, v19, vcc
	v_cmp_nge_f32_e32 vcc, s81, v35
	v_cvt_f32_f16_sdwa v23, v23 dst_sel:DWORD dst_unused:UNUSED_PAD src0_sel:WORD_1
	v_mul_f32_e32 v21, v15, v21
	v_rndne_f32_e32 v36, v36
	v_cndmask_b32_e32 v52, v12, v35, vcc
	v_cmp_nge_f32_e32 vcc, s81, v20
	v_mul_f32_e32 v1, v15, v1
	v_rndne_f32_e32 v21, v21
	v_cndmask_b32_e32 v53, v12, v20, vcc
	v_cmp_nge_f32_e32 vcc, s81, v36
	v_cvt_f32_f16_e32 v39, v24
	v_cvt_f32_f16_sdwa v24, v24 dst_sel:DWORD dst_unused:UNUSED_PAD src0_sel:WORD_1
	v_cvt_f32_f16_e32 v40, v25
	v_cvt_f32_f16_sdwa v25, v25 dst_sel:DWORD dst_unused:UNUSED_PAD src0_sel:WORD_1
	v_mul_f32_e32 v22, v15, v22
	v_rndne_f32_e32 v1, v1
	v_cndmask_b32_e32 v54, v12, v36, vcc
	v_cmp_nge_f32_e32 vcc, s81, v21
	v_mul_f32_e32 v38, v15, v38
	v_rndne_f32_e32 v22, v22
	v_cndmask_b32_e32 v55, v12, v21, vcc
	v_cmp_nge_f32_e32 vcc, s81, v1
	v_cvt_f32_f16_e32 v41, v26
	v_cvt_f32_f16_sdwa v26, v26 dst_sel:DWORD dst_unused:UNUSED_PAD src0_sel:WORD_1
	v_mul_f32_e32 v23, v15, v23
	v_rndne_f32_e32 v38, v38
	v_cndmask_b32_e32 v56, v12, v1, vcc
	v_cmp_nge_f32_e32 vcc, s81, v22
	v_cvt_f32_f16_e32 v42, v27
	v_mul_f32_e32 v37, v15, v37
	v_rndne_f32_e32 v23, v23
	v_cndmask_b32_e32 v57, v12, v22, vcc
	v_cmp_nge_f32_e32 vcc, s81, v38
	v_cvt_f32_f16_sdwa v27, v27 dst_sel:DWORD dst_unused:UNUSED_PAD src0_sel:WORD_1
	v_mul_f32_e32 v24, v15, v24
	v_mul_f32_e32 v40, v15, v40
	;; [unrolled: 1-line block ×3, first 2 shown]
	v_rndne_f32_e32 v37, v37
	v_cndmask_b32_e32 v58, v12, v38, vcc
	v_cmp_nge_f32_e32 vcc, s81, v23
	v_cvt_f32_f16_e32 v43, v28
	v_mul_f32_e32 v39, v15, v39
	v_rndne_f32_e32 v24, v24
	v_rndne_f32_e32 v40, v40
	;; [unrolled: 1-line block ×3, first 2 shown]
	v_cndmask_b32_e32 v59, v12, v23, vcc
	v_cmp_nge_f32_e32 vcc, s81, v37
	v_cvt_f32_f16_sdwa v28, v28 dst_sel:DWORD dst_unused:UNUSED_PAD src0_sel:WORD_1
	v_mul_f32_e32 v26, v15, v26
	v_rndne_f32_e32 v39, v39
	v_cndmask_b32_e32 v60, v12, v37, vcc
	v_cmp_nge_f32_e32 vcc, s81, v24
	v_cmp_nge_f32_e64 s[0:1], s81, v40
	v_cmp_nge_f32_e64 s[2:3], s81, v25
	v_cvt_f32_f16_e32 v44, v29
	v_mul_f32_e32 v42, v15, v42
	v_rndne_f32_e32 v26, v26
	v_cndmask_b32_e32 v61, v12, v24, vcc
	v_cmp_nle_f32_e32 vcc, s80, v49
	v_cndmask_b32_e64 v49, v12, v40, s[0:1]
	v_cmp_nle_f32_e64 s[0:1], s80, v34
	v_cndmask_b32_e64 v34, v12, v25, s[2:3]
	v_cmp_nge_f32_e64 s[2:3], s81, v39
	v_cvt_f32_f16_sdwa v29, v29 dst_sel:DWORD dst_unused:UNUSED_PAD src0_sel:WORD_1
	v_mul_f32_e32 v27, v15, v27
	v_rndne_f32_e32 v42, v42
	v_cmp_nle_f32_e64 s[4:5], s80, v19
	v_cndmask_b32_e64 v19, v12, v39, s[2:3]
	v_cmp_nge_f32_e64 s[2:3], s81, v26
	v_mul_f32_e32 v43, v15, v43
	v_rndne_f32_e32 v27, v27
	v_cmp_nle_f32_e64 s[6:7], s80, v35
	v_cndmask_b32_e64 v35, v12, v26, s[2:3]
	v_cmp_nge_f32_e64 s[2:3], s81, v42
	v_cvt_f32_f16_e32 v45, v30
	v_cvt_f32_f16_sdwa v30, v30 dst_sel:DWORD dst_unused:UNUSED_PAD src0_sel:WORD_1
	v_mul_f32_e32 v28, v15, v28
	v_rndne_f32_e32 v43, v43
	v_cmp_nle_f32_e64 s[8:9], s80, v20
	v_cndmask_b32_e64 v20, v12, v42, s[2:3]
	v_cmp_nge_f32_e64 s[2:3], s81, v27
	v_cvt_f32_f16_e32 v46, v31
	v_mul_f32_e32 v44, v15, v44
	v_rndne_f32_e32 v28, v28
	v_cmp_nle_f32_e64 s[10:11], s80, v36
	v_cndmask_b32_e64 v36, v12, v27, s[2:3]
	v_cmp_nge_f32_e64 s[2:3], s81, v43
	v_cvt_f32_f16_sdwa v31, v31 dst_sel:DWORD dst_unused:UNUSED_PAD src0_sel:WORD_1
	v_mul_f32_e32 v29, v15, v29
	v_rndne_f32_e32 v44, v44
	v_cmp_nle_f32_e64 s[12:13], s80, v21
	v_cndmask_b32_e64 v21, v12, v43, s[2:3]
	v_cmp_nge_f32_e64 s[2:3], s81, v28
	v_mul_f32_e32 v41, v15, v41
	v_rndne_f32_e32 v29, v29
	v_cmp_nle_f32_e64 s[14:15], s80, v22
	v_cndmask_b32_e64 v22, v12, v28, s[2:3]
	v_cmp_nge_f32_e64 s[2:3], s81, v44
	v_cvt_f32_f16_sdwa v32, v32 dst_sel:DWORD dst_unused:UNUSED_PAD src0_sel:WORD_1
	v_mul_f32_e32 v30, v15, v30
	v_rndne_f32_e32 v41, v41
	v_cmp_nle_f32_e64 s[16:17], s80, v38
	v_cndmask_b32_e64 v38, v12, v44, s[2:3]
	v_cmp_nge_f32_e64 s[2:3], s81, v29
	v_cvt_f32_f16_e32 v48, v33
	v_mul_f32_e32 v46, v15, v46
	v_rndne_f32_e32 v30, v30
	v_cmp_nle_f32_e64 s[18:19], s80, v23
	v_cndmask_b32_e64 v23, v12, v29, s[2:3]
	v_cmp_nge_f32_e64 s[2:3], s81, v41
	v_cvt_f32_f16_sdwa v33, v33 dst_sel:DWORD dst_unused:UNUSED_PAD src0_sel:WORD_1
	v_mul_f32_e32 v31, v15, v31
	v_rndne_f32_e32 v46, v46
	v_cmp_nle_f32_e64 s[20:21], s80, v37
	v_cndmask_b32_e64 v37, v12, v41, s[2:3]
	v_cmp_nge_f32_e64 s[2:3], s81, v30
	v_mul_f32_e32 v45, v15, v45
	v_rndne_f32_e32 v31, v31
	v_cmp_nle_f32_e64 s[22:23], s80, v24
	v_cndmask_b32_e64 v24, v12, v30, s[2:3]
	v_cmp_nge_f32_e64 s[2:3], s81, v46
	v_mul_f32_e32 v32, v15, v32
	v_rndne_f32_e32 v45, v45
	v_cmp_nle_f32_e64 s[24:25], s80, v40
	v_cndmask_b32_e64 v40, v12, v46, s[2:3]
	v_cmp_nge_f32_e64 s[2:3], s81, v31
	v_mul_f32_e32 v48, v15, v48
	v_rndne_f32_e32 v32, v32
	v_cmp_nle_f32_e64 s[26:27], s80, v25
	v_cndmask_b32_e64 v25, v12, v31, s[2:3]
	v_cmp_nge_f32_e64 s[2:3], s81, v45
	v_mul_f32_e32 v33, v15, v33
	v_rndne_f32_e32 v48, v48
	v_cmp_nle_f32_e64 s[28:29], s80, v39
	v_cndmask_b32_e64 v39, v12, v45, s[2:3]
	v_cmp_nge_f32_e64 s[2:3], s81, v32
	v_rndne_f32_e32 v33, v33
	v_cmp_nle_f32_e64 s[30:31], s80, v26
	v_cndmask_b32_e64 v26, v12, v32, s[2:3]
	v_cmp_nge_f32_e64 s[2:3], s81, v48
	v_cmp_nle_f32_e64 s[34:35], s80, v42
	v_cndmask_b32_e64 v42, v12, v48, s[2:3]
	v_cmp_nge_f32_e64 s[2:3], s81, v33
	;; [unrolled: 3-line block ×3, first 2 shown]
	v_cvt_i32_f32_e32 v47, v47
	v_cvt_i32_f32_e32 v50, v50
	;; [unrolled: 1-line block ×3, first 2 shown]
	v_cmp_nle_f32_e64 s[38:39], s80, v43
	v_cndmask_b32_e64 v43, v12, v18, s[2:3]
	v_cvt_i32_f32_e32 v56, v56
	v_cvt_i32_f32_e32 v27, v27
	v_cvt_i32_f32_e32 v52, v52
	v_cvt_i32_f32_e32 v53, v53
	v_cvt_i32_f32_e32 v54, v54
	v_cvt_i32_f32_e32 v55, v55
	v_cvt_i32_f32_e32 v57, v57
	v_cvt_i32_f32_e32 v58, v58
	v_cvt_i32_f32_e32 v59, v59
	v_cvt_i32_f32_e32 v60, v60
	v_cvt_i32_f32_e32 v61, v61
	v_cvt_i32_f32_e32 v49, v49
	v_cvt_i32_f32_e32 v34, v34
	v_cvt_i32_f32_e32 v19, v19
	v_cvt_i32_f32_e32 v35, v35
	v_cvt_i32_f32_e32 v20, v20
	v_cvt_i32_f32_e32 v36, v36
	v_cvt_i32_f32_e32 v21, v21
	v_cvt_i32_f32_e32 v22, v22
	v_cmp_nle_f32_e64 s[2:3], s80, v28
	v_cvt_i32_f32_e32 v28, v38
	v_cvt_i32_f32_e32 v23, v23
	v_cmp_nle_f32_e64 s[42:43], s80, v29
	v_cvt_i32_f32_e32 v29, v37
	v_cvt_i32_f32_e32 v24, v24
	v_cmp_nle_f32_e64 s[46:47], s80, v30
	v_cvt_i32_f32_e32 v30, v40
	v_cvt_i32_f32_e32 v25, v25
	v_cmp_nle_f32_e64 s[50:51], s80, v31
	v_cvt_i32_f32_e32 v31, v39
	v_cvt_i32_f32_e32 v26, v26
	v_cmp_nle_f32_e64 s[54:55], s80, v32
	v_cvt_i32_f32_e32 v32, v42
	v_cmp_nle_f32_e64 s[58:59], s80, v33
	v_cvt_i32_f32_e32 v33, v43
	v_cmp_nle_f32_e64 s[62:63], s80, v1
	v_cmp_nle_f32_e64 s[40:41], s80, v44
	v_cmp_nle_f32_e64 s[44:45], s80, v41
	v_cmp_nle_f32_e64 s[48:49], s80, v46
	v_cmp_nle_f32_e64 s[52:53], s80, v45
	v_cmp_nle_f32_e64 s[56:57], s80, v48
	v_cmp_nle_f32_e64 s[60:61], s80, v18
	v_cndmask_b32_e64 v1, v13, v56, s[62:63]
	v_cndmask_b32_e32 v18, v13, v47, vcc
	v_cndmask_b32_e64 v37, v13, v50, s[0:1]
	v_cndmask_b32_e64 v38, v13, v51, s[4:5]
	;; [unrolled: 1-line block ×30, first 2 shown]
	v_add_u32_e32 v1, s84, v1
	v_add_u32_e32 v18, s84, v18
	;; [unrolled: 1-line block ×32, first 2 shown]
	v_med3_i32 v1, v1, s82, v14
	v_med3_i32 v18, v18, s82, v14
	;; [unrolled: 1-line block ×32, first 2 shown]
	v_perm_b32 v1, v1, v18, s73
	v_perm_b32 v18, v37, v38, s73
	v_lshlrev_b16_e32 v27, 8, v27
	v_perm_b32 v37, v39, v40, s73
	v_perm_b32 v38, v41, v42, s73
	;; [unrolled: 1-line block ×13, first 2 shown]
	v_lshl_or_b32 v18, v18, 16, v1
	v_or_b32_sdwa v1, v32, v27 dst_sel:WORD_1 dst_unused:UNUSED_PAD src0_sel:BYTE_0 src1_sel:DWORD
	v_lshl_or_b32 v19, v38, 16, v37
	v_lshl_or_b32 v20, v40, 16, v39
	;; [unrolled: 1-line block ×6, first 2 shown]
	v_or_b32_e32 v25, v26, v1
	global_store_dwordx4 v[5:6], v[18:21], off
	global_store_dwordx4 v[7:8], v[22:25], off
	s_andn2_b64 exec, exec, s[76:77]
	s_cbranch_execnz .LBB3_102
; %bb.103:
	s_or_b64 exec, exec, s[76:77]
	v_cmp_ne_u32_e32 vcc, v9, v10
	v_add_u32_e32 v0, v0, v10
	s_orn2_b64 s[0:1], vcc, exec
.LBB3_104:
	s_or_b64 exec, exec, s[74:75]
	s_and_b64 exec, exec, s[0:1]
	s_cbranch_execz .LBB3_171
; %bb.105:
	v_mov_b32_e32 v1, 0
	v_lshlrev_b64 v[2:3], 4, v[0:1]
	s_add_u32 s0, s66, s70
	s_addc_u32 s1, s67, s71
	v_mov_b32_e32 v4, s1
	v_add_co_u32_e32 v2, vcc, s0, v2
	v_addc_co_u32_e32 v3, vcc, v4, v3, vcc
	s_lshl_b32 s6, s33, 4
	v_add_co_u32_e32 v9, vcc, 7, v2
	v_lshlrev_b64 v[1:2], 5, v[0:1]
	s_add_u32 s0, s64, s68
	v_addc_co_u32_e32 v10, vcc, 0, v3, vcc
	s_addc_u32 s1, s65, s69
	v_mov_b32_e32 v3, s1
	v_add_co_u32_e32 v11, vcc, s0, v1
	v_addc_co_u32_e32 v12, vcc, v3, v2, vcc
	s_lshl_b32 s7, s33, 5
	s_mov_b64 s[0:1], 0
	s_mov_b32 s8, 0x4f000000
	s_mov_b32 s9, 0xcf000000
	s_movk_i32 s10, 0xff80
	v_mov_b32_e32 v13, 0x7f
	s_branch .LBB3_108
.LBB3_106:                              ;   in Loop: Header=BB3_108 Depth=1
	s_or_b64 exec, exec, s[4:5]
.LBB3_107:                              ;   in Loop: Header=BB3_108 Depth=1
	s_or_b64 exec, exec, s[2:3]
	v_add_u32_e32 v2, s84, v2
	v_add_u32_e32 v3, s84, v3
	;; [unrolled: 1-line block ×3, first 2 shown]
	v_med3_i32 v2, v2, s10, v13
	v_add_u32_e32 v22, s84, v22
	v_med3_i32 v3, v3, s10, v13
	v_med3_i32 v4, v4, s10, v13
	v_med3_i32 v22, v22, s10, v13
	v_add_u32_e32 v1, s84, v1
	v_add_u32_e32 v8, s84, v8
	v_lshlrev_b16_e32 v2, 8, v2
	v_lshlrev_b16_e32 v3, 8, v3
	v_med3_i32 v1, v1, s10, v13
	v_add_u32_e32 v21, s84, v21
	v_med3_i32 v8, v8, s10, v13
	v_add_u32_e32 v20, s84, v20
	v_or_b32_sdwa v2, v22, v2 dst_sel:DWORD dst_unused:UNUSED_PAD src0_sel:BYTE_0 src1_sel:DWORD
	v_or_b32_sdwa v3, v4, v3 dst_sel:WORD_1 dst_unused:UNUSED_PAD src0_sel:BYTE_0 src1_sel:DWORD
	v_med3_i32 v21, v21, s10, v13
	v_med3_i32 v20, v20, s10, v13
	v_add_u32_e32 v7, s84, v7
	v_add_u32_e32 v6, s84, v6
	v_or_b32_sdwa v4, v2, v3 dst_sel:DWORD dst_unused:UNUSED_PAD src0_sel:WORD_0 src1_sel:DWORD
	v_lshlrev_b16_e32 v2, 8, v8
	v_lshlrev_b16_e32 v1, 8, v1
	v_med3_i32 v7, v7, s10, v13
	v_add_u32_e32 v19, s84, v19
	v_med3_i32 v6, v6, s10, v13
	v_add_u32_e32 v18, s84, v18
	v_or_b32_sdwa v2, v20, v2 dst_sel:DWORD dst_unused:UNUSED_PAD src0_sel:BYTE_0 src1_sel:DWORD
	v_or_b32_sdwa v1, v21, v1 dst_sel:WORD_1 dst_unused:UNUSED_PAD src0_sel:BYTE_0 src1_sel:DWORD
	v_med3_i32 v19, v19, s10, v13
	v_med3_i32 v18, v18, s10, v13
	v_add_u32_e32 v5, s84, v5
	v_add_u32_e32 v14, s84, v14
	v_or_b32_sdwa v3, v2, v1 dst_sel:DWORD dst_unused:UNUSED_PAD src0_sel:WORD_0 src1_sel:DWORD
	v_lshlrev_b16_e32 v1, 8, v6
	v_lshlrev_b16_e32 v2, 8, v7
	v_med3_i32 v5, v5, s10, v13
	v_add_u32_e32 v17, s84, v17
	v_med3_i32 v14, v14, s10, v13
	v_add_u32_e32 v16, s84, v16
	v_or_b32_sdwa v1, v18, v1 dst_sel:DWORD dst_unused:UNUSED_PAD src0_sel:BYTE_0 src1_sel:DWORD
	v_or_b32_sdwa v2, v19, v2 dst_sel:WORD_1 dst_unused:UNUSED_PAD src0_sel:BYTE_0 src1_sel:DWORD
	v_med3_i32 v17, v17, s10, v13
	v_med3_i32 v16, v16, s10, v13
	v_or_b32_sdwa v2, v1, v2 dst_sel:DWORD dst_unused:UNUSED_PAD src0_sel:WORD_0 src1_sel:DWORD
	v_lshlrev_b16_e32 v1, 8, v14
	v_lshlrev_b16_e32 v5, 8, v5
	v_or_b32_sdwa v1, v16, v1 dst_sel:DWORD dst_unused:UNUSED_PAD src0_sel:BYTE_0 src1_sel:DWORD
	v_or_b32_sdwa v5, v17, v5 dst_sel:WORD_1 dst_unused:UNUSED_PAD src0_sel:BYTE_0 src1_sel:DWORD
	v_or_b32_sdwa v1, v1, v5 dst_sel:DWORD dst_unused:UNUSED_PAD src0_sel:WORD_0 src1_sel:DWORD
	global_store_dwordx4 v[9:10], v[1:4], off offset:-7
	v_add_co_u32_e32 v9, vcc, s6, v9
	v_add_u32_e32 v0, s33, v0
	v_addc_co_u32_e32 v10, vcc, 0, v10, vcc
	v_cmp_le_i32_e32 vcc, s78, v0
	s_or_b64 s[0:1], vcc, s[0:1]
	v_add_co_u32_e32 v11, vcc, s7, v11
	v_addc_co_u32_e32 v12, vcc, 0, v12, vcc
	s_andn2_b64 exec, exec, s[0:1]
	s_cbranch_execz .LBB3_171
.LBB3_108:                              ; =>This Inner Loop Header: Depth=1
	global_load_dwordx4 v[5:8], v[11:12], off
	global_load_dwordx4 v[1:4], v[11:12], off offset:16
	v_bfrev_b32_e32 v14, -2
	s_waitcnt vmcnt(1)
	v_cvt_f32_f16_e32 v16, v5
	v_mul_f32_e32 v16, v15, v16
	v_rndne_f32_e32 v17, v16
	v_cmp_nle_f32_e32 vcc, s8, v17
	v_bfrev_b32_e32 v16, -2
	s_and_saveexec_b64 s[2:3], vcc
	s_cbranch_execz .LBB3_112
; %bb.109:                              ;   in Loop: Header=BB3_108 Depth=1
	v_cmp_nge_f32_e32 vcc, s9, v17
	v_bfrev_b32_e32 v16, 1
	s_and_saveexec_b64 s[4:5], vcc
; %bb.110:                              ;   in Loop: Header=BB3_108 Depth=1
	v_cvt_i32_f32_e32 v16, v17
; %bb.111:                              ;   in Loop: Header=BB3_108 Depth=1
	s_or_b64 exec, exec, s[4:5]
.LBB3_112:                              ;   in Loop: Header=BB3_108 Depth=1
	s_or_b64 exec, exec, s[2:3]
	v_cvt_f32_f16_sdwa v5, v5 dst_sel:DWORD dst_unused:UNUSED_PAD src0_sel:WORD_1
	v_mul_f32_e32 v5, v15, v5
	v_rndne_f32_e32 v5, v5
	v_cmp_nle_f32_e32 vcc, s8, v5
	s_and_saveexec_b64 s[2:3], vcc
	s_cbranch_execz .LBB3_116
; %bb.113:                              ;   in Loop: Header=BB3_108 Depth=1
	v_cmp_nge_f32_e32 vcc, s9, v5
	v_bfrev_b32_e32 v14, 1
	s_and_saveexec_b64 s[4:5], vcc
; %bb.114:                              ;   in Loop: Header=BB3_108 Depth=1
	v_cvt_i32_f32_e32 v14, v5
; %bb.115:                              ;   in Loop: Header=BB3_108 Depth=1
	s_or_b64 exec, exec, s[4:5]
.LBB3_116:                              ;   in Loop: Header=BB3_108 Depth=1
	s_or_b64 exec, exec, s[2:3]
	v_cvt_f32_f16_e32 v17, v6
	v_bfrev_b32_e32 v5, -2
	v_mul_f32_e32 v17, v15, v17
	v_rndne_f32_e32 v18, v17
	v_cmp_nle_f32_e32 vcc, s8, v18
	v_bfrev_b32_e32 v17, -2
	s_and_saveexec_b64 s[2:3], vcc
	s_cbranch_execz .LBB3_120
; %bb.117:                              ;   in Loop: Header=BB3_108 Depth=1
	v_cmp_nge_f32_e32 vcc, s9, v18
	v_bfrev_b32_e32 v17, 1
	s_and_saveexec_b64 s[4:5], vcc
; %bb.118:                              ;   in Loop: Header=BB3_108 Depth=1
	v_cvt_i32_f32_e32 v17, v18
; %bb.119:                              ;   in Loop: Header=BB3_108 Depth=1
	s_or_b64 exec, exec, s[4:5]
.LBB3_120:                              ;   in Loop: Header=BB3_108 Depth=1
	s_or_b64 exec, exec, s[2:3]
	v_cvt_f32_f16_sdwa v6, v6 dst_sel:DWORD dst_unused:UNUSED_PAD src0_sel:WORD_1
	v_mul_f32_e32 v6, v15, v6
	v_rndne_f32_e32 v6, v6
	v_cmp_nle_f32_e32 vcc, s8, v6
	s_and_saveexec_b64 s[2:3], vcc
	s_cbranch_execz .LBB3_124
; %bb.121:                              ;   in Loop: Header=BB3_108 Depth=1
	v_cmp_nge_f32_e32 vcc, s9, v6
	v_bfrev_b32_e32 v5, 1
	s_and_saveexec_b64 s[4:5], vcc
; %bb.122:                              ;   in Loop: Header=BB3_108 Depth=1
	v_cvt_i32_f32_e32 v5, v6
; %bb.123:                              ;   in Loop: Header=BB3_108 Depth=1
	s_or_b64 exec, exec, s[4:5]
.LBB3_124:                              ;   in Loop: Header=BB3_108 Depth=1
	s_or_b64 exec, exec, s[2:3]
	v_cvt_f32_f16_e32 v18, v7
	v_bfrev_b32_e32 v6, -2
	;; [unrolled: 34-line block ×3, first 2 shown]
	v_mul_f32_e32 v19, v15, v19
	v_rndne_f32_e32 v20, v19
	v_cmp_nle_f32_e32 vcc, s8, v20
	v_bfrev_b32_e32 v19, -2
	s_and_saveexec_b64 s[2:3], vcc
	s_cbranch_execz .LBB3_136
; %bb.133:                              ;   in Loop: Header=BB3_108 Depth=1
	v_cmp_nge_f32_e32 vcc, s9, v20
	v_bfrev_b32_e32 v19, 1
	s_and_saveexec_b64 s[4:5], vcc
; %bb.134:                              ;   in Loop: Header=BB3_108 Depth=1
	v_cvt_i32_f32_e32 v19, v20
; %bb.135:                              ;   in Loop: Header=BB3_108 Depth=1
	s_or_b64 exec, exec, s[4:5]
.LBB3_136:                              ;   in Loop: Header=BB3_108 Depth=1
	s_or_b64 exec, exec, s[2:3]
	v_cvt_f32_f16_sdwa v8, v8 dst_sel:DWORD dst_unused:UNUSED_PAD src0_sel:WORD_1
	v_mul_f32_e32 v8, v15, v8
	v_rndne_f32_e32 v8, v8
	v_cmp_nle_f32_e32 vcc, s8, v8
	s_and_saveexec_b64 s[2:3], vcc
	s_cbranch_execz .LBB3_140
; %bb.137:                              ;   in Loop: Header=BB3_108 Depth=1
	v_cmp_nge_f32_e32 vcc, s9, v8
	v_bfrev_b32_e32 v7, 1
	s_and_saveexec_b64 s[4:5], vcc
; %bb.138:                              ;   in Loop: Header=BB3_108 Depth=1
	v_cvt_i32_f32_e32 v7, v8
; %bb.139:                              ;   in Loop: Header=BB3_108 Depth=1
	s_or_b64 exec, exec, s[4:5]
.LBB3_140:                              ;   in Loop: Header=BB3_108 Depth=1
	s_or_b64 exec, exec, s[2:3]
	s_waitcnt vmcnt(0)
	v_cvt_f32_f16_e32 v20, v1
	v_bfrev_b32_e32 v8, -2
	v_mul_f32_e32 v20, v15, v20
	v_rndne_f32_e32 v21, v20
	v_cmp_nle_f32_e32 vcc, s8, v21
	v_bfrev_b32_e32 v20, -2
	s_and_saveexec_b64 s[2:3], vcc
	s_cbranch_execz .LBB3_144
; %bb.141:                              ;   in Loop: Header=BB3_108 Depth=1
	v_cmp_nge_f32_e32 vcc, s9, v21
	v_bfrev_b32_e32 v20, 1
	s_and_saveexec_b64 s[4:5], vcc
; %bb.142:                              ;   in Loop: Header=BB3_108 Depth=1
	v_cvt_i32_f32_e32 v20, v21
; %bb.143:                              ;   in Loop: Header=BB3_108 Depth=1
	s_or_b64 exec, exec, s[4:5]
.LBB3_144:                              ;   in Loop: Header=BB3_108 Depth=1
	s_or_b64 exec, exec, s[2:3]
	v_cvt_f32_f16_sdwa v1, v1 dst_sel:DWORD dst_unused:UNUSED_PAD src0_sel:WORD_1
	v_mul_f32_e32 v1, v15, v1
	v_rndne_f32_e32 v1, v1
	v_cmp_nle_f32_e32 vcc, s8, v1
	s_and_saveexec_b64 s[2:3], vcc
	s_cbranch_execz .LBB3_148
; %bb.145:                              ;   in Loop: Header=BB3_108 Depth=1
	v_cmp_nge_f32_e32 vcc, s9, v1
	v_bfrev_b32_e32 v8, 1
	s_and_saveexec_b64 s[4:5], vcc
; %bb.146:                              ;   in Loop: Header=BB3_108 Depth=1
	v_cvt_i32_f32_e32 v8, v1
; %bb.147:                              ;   in Loop: Header=BB3_108 Depth=1
	s_or_b64 exec, exec, s[4:5]
.LBB3_148:                              ;   in Loop: Header=BB3_108 Depth=1
	s_or_b64 exec, exec, s[2:3]
	v_cvt_f32_f16_e32 v21, v2
	v_bfrev_b32_e32 v1, -2
	v_mul_f32_e32 v21, v15, v21
	v_rndne_f32_e32 v22, v21
	v_cmp_nle_f32_e32 vcc, s8, v22
	v_bfrev_b32_e32 v21, -2
	s_and_saveexec_b64 s[2:3], vcc
	s_cbranch_execz .LBB3_152
; %bb.149:                              ;   in Loop: Header=BB3_108 Depth=1
	v_cmp_nge_f32_e32 vcc, s9, v22
	v_bfrev_b32_e32 v21, 1
	s_and_saveexec_b64 s[4:5], vcc
; %bb.150:                              ;   in Loop: Header=BB3_108 Depth=1
	v_cvt_i32_f32_e32 v21, v22
; %bb.151:                              ;   in Loop: Header=BB3_108 Depth=1
	s_or_b64 exec, exec, s[4:5]
.LBB3_152:                              ;   in Loop: Header=BB3_108 Depth=1
	s_or_b64 exec, exec, s[2:3]
	v_cvt_f32_f16_sdwa v2, v2 dst_sel:DWORD dst_unused:UNUSED_PAD src0_sel:WORD_1
	v_mul_f32_e32 v2, v15, v2
	v_rndne_f32_e32 v2, v2
	v_cmp_nle_f32_e32 vcc, s8, v2
	s_and_saveexec_b64 s[2:3], vcc
	s_cbranch_execz .LBB3_156
; %bb.153:                              ;   in Loop: Header=BB3_108 Depth=1
	v_cmp_nge_f32_e32 vcc, s9, v2
	v_bfrev_b32_e32 v1, 1
	s_and_saveexec_b64 s[4:5], vcc
; %bb.154:                              ;   in Loop: Header=BB3_108 Depth=1
	v_cvt_i32_f32_e32 v1, v2
; %bb.155:                              ;   in Loop: Header=BB3_108 Depth=1
	s_or_b64 exec, exec, s[4:5]
.LBB3_156:                              ;   in Loop: Header=BB3_108 Depth=1
	s_or_b64 exec, exec, s[2:3]
	;; [unrolled: 34-line block ×3, first 2 shown]
	v_cvt_f32_f16_e32 v23, v4
	v_bfrev_b32_e32 v3, -2
	v_mul_f32_e32 v23, v15, v23
	v_rndne_f32_e32 v24, v23
	v_cmp_nle_f32_e32 vcc, s8, v24
	v_bfrev_b32_e32 v23, -2
	s_and_saveexec_b64 s[2:3], vcc
	s_cbranch_execz .LBB3_168
; %bb.165:                              ;   in Loop: Header=BB3_108 Depth=1
	v_cmp_nge_f32_e32 vcc, s9, v24
	v_bfrev_b32_e32 v23, 1
	s_and_saveexec_b64 s[4:5], vcc
; %bb.166:                              ;   in Loop: Header=BB3_108 Depth=1
	v_cvt_i32_f32_e32 v23, v24
; %bb.167:                              ;   in Loop: Header=BB3_108 Depth=1
	s_or_b64 exec, exec, s[4:5]
.LBB3_168:                              ;   in Loop: Header=BB3_108 Depth=1
	s_or_b64 exec, exec, s[2:3]
	v_cvt_f32_f16_sdwa v4, v4 dst_sel:DWORD dst_unused:UNUSED_PAD src0_sel:WORD_1
	v_mul_f32_e32 v4, v15, v4
	v_rndne_f32_e32 v4, v4
	v_cmp_nle_f32_e32 vcc, s8, v4
	s_and_saveexec_b64 s[2:3], vcc
	s_cbranch_execz .LBB3_107
; %bb.169:                              ;   in Loop: Header=BB3_108 Depth=1
	v_cmp_nge_f32_e32 vcc, s9, v4
	v_bfrev_b32_e32 v3, 1
	s_and_saveexec_b64 s[4:5], vcc
	s_cbranch_execz .LBB3_106
; %bb.170:                              ;   in Loop: Header=BB3_108 Depth=1
	v_cvt_i32_f32_e32 v3, v4
	s_branch .LBB3_106
.LBB3_171:
	s_endpgm
	.section	.rodata,"a",@progbits
	.p2align	6, 0x0
	.amdhsa_kernel _ZN4vllm35static_scaled_int8_azp_quant_kernelIN3c104HalfEfiEEvPKT_PaPKT0_PKT1_i
		.amdhsa_group_segment_fixed_size 0
		.amdhsa_private_segment_fixed_size 0
		.amdhsa_kernarg_size 296
		.amdhsa_user_sgpr_count 6
		.amdhsa_user_sgpr_private_segment_buffer 1
		.amdhsa_user_sgpr_dispatch_ptr 0
		.amdhsa_user_sgpr_queue_ptr 0
		.amdhsa_user_sgpr_kernarg_segment_ptr 1
		.amdhsa_user_sgpr_dispatch_id 0
		.amdhsa_user_sgpr_flat_scratch_init 0
		.amdhsa_user_sgpr_private_segment_size 0
		.amdhsa_uses_dynamic_stack 0
		.amdhsa_system_sgpr_private_segment_wavefront_offset 0
		.amdhsa_system_sgpr_workgroup_id_x 1
		.amdhsa_system_sgpr_workgroup_id_y 0
		.amdhsa_system_sgpr_workgroup_id_z 0
		.amdhsa_system_sgpr_workgroup_info 0
		.amdhsa_system_vgpr_workitem_id 0
		.amdhsa_next_free_vgpr 63
		.amdhsa_next_free_sgpr 96
		.amdhsa_reserve_vcc 1
		.amdhsa_reserve_flat_scratch 0
		.amdhsa_float_round_mode_32 0
		.amdhsa_float_round_mode_16_64 0
		.amdhsa_float_denorm_mode_32 3
		.amdhsa_float_denorm_mode_16_64 3
		.amdhsa_dx10_clamp 1
		.amdhsa_ieee_mode 1
		.amdhsa_fp16_overflow 0
		.amdhsa_exception_fp_ieee_invalid_op 0
		.amdhsa_exception_fp_denorm_src 0
		.amdhsa_exception_fp_ieee_div_zero 0
		.amdhsa_exception_fp_ieee_overflow 0
		.amdhsa_exception_fp_ieee_underflow 0
		.amdhsa_exception_fp_ieee_inexact 0
		.amdhsa_exception_int_div_zero 0
	.end_amdhsa_kernel
	.section	.text._ZN4vllm35static_scaled_int8_azp_quant_kernelIN3c104HalfEfiEEvPKT_PaPKT0_PKT1_i,"axG",@progbits,_ZN4vllm35static_scaled_int8_azp_quant_kernelIN3c104HalfEfiEEvPKT_PaPKT0_PKT1_i,comdat
.Lfunc_end3:
	.size	_ZN4vllm35static_scaled_int8_azp_quant_kernelIN3c104HalfEfiEEvPKT_PaPKT0_PKT1_i, .Lfunc_end3-_ZN4vllm35static_scaled_int8_azp_quant_kernelIN3c104HalfEfiEEvPKT_PaPKT0_PKT1_i
                                        ; -- End function
	.set _ZN4vllm35static_scaled_int8_azp_quant_kernelIN3c104HalfEfiEEvPKT_PaPKT0_PKT1_i.num_vgpr, 63
	.set _ZN4vllm35static_scaled_int8_azp_quant_kernelIN3c104HalfEfiEEvPKT_PaPKT0_PKT1_i.num_agpr, 0
	.set _ZN4vllm35static_scaled_int8_azp_quant_kernelIN3c104HalfEfiEEvPKT_PaPKT0_PKT1_i.numbered_sgpr, 96
	.set _ZN4vllm35static_scaled_int8_azp_quant_kernelIN3c104HalfEfiEEvPKT_PaPKT0_PKT1_i.num_named_barrier, 0
	.set _ZN4vllm35static_scaled_int8_azp_quant_kernelIN3c104HalfEfiEEvPKT_PaPKT0_PKT1_i.private_seg_size, 0
	.set _ZN4vllm35static_scaled_int8_azp_quant_kernelIN3c104HalfEfiEEvPKT_PaPKT0_PKT1_i.uses_vcc, 1
	.set _ZN4vllm35static_scaled_int8_azp_quant_kernelIN3c104HalfEfiEEvPKT_PaPKT0_PKT1_i.uses_flat_scratch, 0
	.set _ZN4vllm35static_scaled_int8_azp_quant_kernelIN3c104HalfEfiEEvPKT_PaPKT0_PKT1_i.has_dyn_sized_stack, 0
	.set _ZN4vllm35static_scaled_int8_azp_quant_kernelIN3c104HalfEfiEEvPKT_PaPKT0_PKT1_i.has_recursion, 0
	.set _ZN4vllm35static_scaled_int8_azp_quant_kernelIN3c104HalfEfiEEvPKT_PaPKT0_PKT1_i.has_indirect_call, 0
	.section	.AMDGPU.csdata,"",@progbits
; Kernel info:
; codeLenInByte = 8924
; TotalNumSgprs: 100
; NumVgprs: 63
; ScratchSize: 0
; MemoryBound: 0
; FloatMode: 240
; IeeeMode: 1
; LDSByteSize: 0 bytes/workgroup (compile time only)
; SGPRBlocks: 12
; VGPRBlocks: 15
; NumSGPRsForWavesPerEU: 100
; NumVGPRsForWavesPerEU: 63
; Occupancy: 4
; WaveLimiterHint : 0
; COMPUTE_PGM_RSRC2:SCRATCH_EN: 0
; COMPUTE_PGM_RSRC2:USER_SGPR: 6
; COMPUTE_PGM_RSRC2:TRAP_HANDLER: 0
; COMPUTE_PGM_RSRC2:TGID_X_EN: 1
; COMPUTE_PGM_RSRC2:TGID_Y_EN: 0
; COMPUTE_PGM_RSRC2:TGID_Z_EN: 0
; COMPUTE_PGM_RSRC2:TIDIG_COMP_CNT: 0
	.section	.text._ZN4vllm31static_scaled_int8_quant_kernelIN3c108BFloat16EfEEvPKT_PaPKT0_i,"axG",@progbits,_ZN4vllm31static_scaled_int8_quant_kernelIN3c108BFloat16EfEEvPKT_PaPKT0_i,comdat
	.protected	_ZN4vllm31static_scaled_int8_quant_kernelIN3c108BFloat16EfEEvPKT_PaPKT0_i ; -- Begin function _ZN4vllm31static_scaled_int8_quant_kernelIN3c108BFloat16EfEEvPKT_PaPKT0_i
	.globl	_ZN4vllm31static_scaled_int8_quant_kernelIN3c108BFloat16EfEEvPKT_PaPKT0_i
	.p2align	8
	.type	_ZN4vllm31static_scaled_int8_quant_kernelIN3c108BFloat16EfEEvPKT_PaPKT0_i,@function
_ZN4vllm31static_scaled_int8_quant_kernelIN3c108BFloat16EfEEvPKT_PaPKT0_i: ; @_ZN4vllm31static_scaled_int8_quant_kernelIN3c108BFloat16EfEEvPKT_PaPKT0_i
; %bb.0:
	s_load_dword s22, s[4:5], 0x18
	s_load_dword s2, s[4:5], 0x2c
	s_load_dwordx2 s[0:1], s[4:5], 0x10
	s_load_dwordx4 s[8:11], s[4:5], 0x0
	s_waitcnt lgkmcnt(0)
	s_ashr_i32 s3, s22, 31
	s_mul_i32 s3, s3, s6
	s_load_dword s21, s[0:1], 0x0
	s_mul_hi_u32 s0, s22, s6
	s_add_i32 s5, s0, s3
	s_mul_i32 s4, s22, s6
	s_and_b32 s20, s2, 0xffff
	s_lshl_b64 s[2:3], s[4:5], 1
	s_add_u32 s23, s8, s2
	s_addc_u32 s24, s9, s3
	s_and_b32 s0, s23, 31
	s_mov_b32 s1, 0
	s_cmp_lg_u64 s[0:1], 0
	s_cselect_b64 s[0:1], -1, 0
	s_and_b32 s6, s22, 15
	s_cmp_lg_u32 s6, 0
	s_cselect_b64 s[6:7], -1, 0
	s_or_b64 s[6:7], s[6:7], s[0:1]
	s_mov_b64 s[0:1], -1
	s_and_b64 vcc, exec, s[6:7]
	s_cbranch_vccz .LBB4_21
; %bb.1:
	s_add_u32 s12, s10, s4
	s_addc_u32 s13, s11, s5
	s_sub_i32 s0, 0, s23
	s_bfe_u32 s0, s0, 0x40001
	s_min_i32 s6, s0, s22
	v_cmp_gt_i32_e32 vcc, s6, v0
	s_and_saveexec_b64 s[14:15], vcc
	s_cbranch_execz .LBB4_9
; %bb.2:
	v_add_u32_e32 v1, 1, v0
	v_max_i32_e32 v1, s6, v1
	s_and_b32 s0, s20, 0xffff
	v_sub_u32_e32 v3, v1, v0
	s_cmp_eq_u32 s0, 1
	v_cmp_lt_u32_e32 vcc, 1, v3
	s_cselect_b64 s[0:1], -1, 0
	s_and_b64 s[18:19], vcc, s[0:1]
	s_mov_b64 s[0:1], -1
	v_mov_b32_e32 v1, v0
	s_and_saveexec_b64 s[16:17], s[18:19]
	s_cbranch_execz .LBB4_6
; %bb.3:
	v_and_b32_e32 v4, -2, v3
	s_waitcnt lgkmcnt(0)
	s_mov_b32 s7, s21
	s_mov_b64 s[18:19], 0
	v_mov_b32_e32 v2, 0
	v_mov_b32_e32 v5, s24
	s_mov_b32 s25, 0x42fe0000
	v_mov_b32_e32 v6, 0x42fe0000
	s_mov_b32 s26, 0xc3000000
	v_mov_b32_e32 v7, 0xc3000000
	v_mov_b32_e32 v1, v0
	;; [unrolled: 1-line block ×3, first 2 shown]
.LBB4_4:                                ; =>This Inner Loop Header: Depth=1
	v_lshlrev_b64 v[9:10], 1, v[1:2]
	v_add_u32_e32 v8, -2, v8
	v_add_co_u32_e32 v9, vcc, s23, v9
	v_addc_co_u32_e32 v10, vcc, v5, v10, vcc
	global_load_dword v9, v[9:10], off
	s_waitcnt vmcnt(0)
	v_lshlrev_b32_e32 v10, 16, v9
	v_and_b32_e32 v9, 0xffff0000, v9
	v_div_scale_f32 v11, s[0:1], s7, s7, v9
	v_div_scale_f32 v12, s[0:1], s21, s21, v10
	v_div_scale_f32 v13, vcc, v9, s7, v9
	v_div_scale_f32 v14, s[0:1], v10, s21, v10
	v_rcp_f32_e32 v15, v11
	v_rcp_f32_e32 v16, v12
	v_fma_f32 v17, -v11, v15, 1.0
	v_fmac_f32_e32 v15, v17, v15
	v_fma_f32 v18, -v12, v16, 1.0
	v_fmac_f32_e32 v16, v18, v16
	v_mul_f32_e32 v17, v13, v15
	v_mul_f32_e32 v18, v14, v16
	v_fma_f32 v19, -v11, v17, v13
	v_fma_f32 v20, -v12, v18, v14
	v_fmac_f32_e32 v17, v19, v15
	v_fmac_f32_e32 v18, v20, v16
	v_fma_f32 v11, -v11, v17, v13
	v_fma_f32 v12, -v12, v18, v14
	v_div_fmas_f32 v11, v11, v15, v17
	s_mov_b64 vcc, s[0:1]
	v_div_fmas_f32 v12, v12, v16, v18
	v_div_fixup_f32 v9, v11, s7, v9
	v_rndne_f32_e32 v9, v9
	v_div_fixup_f32 v10, v12, s21, v10
	v_rndne_f32_e32 v10, v10
	v_cmp_nlt_f32_e32 vcc, s25, v9
	v_cndmask_b32_e32 v11, v6, v9, vcc
	v_cmp_nlt_f32_e32 vcc, s25, v10
	v_cndmask_b32_e32 v12, v6, v10, vcc
	v_cmp_ngt_f32_e32 vcc, s26, v9
	v_cndmask_b32_e32 v9, v7, v11, vcc
	v_cmp_ngt_f32_e32 vcc, s26, v10
	v_cndmask_b32_e32 v10, v7, v12, vcc
	v_cvt_i32_f32_sdwa v9, v9 dst_sel:BYTE_1 dst_unused:UNUSED_PAD src0_sel:DWORD
	v_cvt_i32_f32_e32 v10, v10
	v_cmp_eq_u32_e32 vcc, 0, v8
	s_or_b64 s[18:19], vcc, s[18:19]
	v_or_b32_sdwa v9, v10, v9 dst_sel:DWORD dst_unused:UNUSED_PAD src0_sel:BYTE_0 src1_sel:DWORD
	global_store_short v1, v9, s[12:13]
	v_add_u32_e32 v1, 2, v1
	s_andn2_b64 exec, exec, s[18:19]
	s_cbranch_execnz .LBB4_4
; %bb.5:
	s_or_b64 exec, exec, s[18:19]
	v_cmp_ne_u32_e32 vcc, v3, v4
	v_add_u32_e32 v1, v0, v4
	s_orn2_b64 s[0:1], vcc, exec
.LBB4_6:
	s_or_b64 exec, exec, s[16:17]
	s_and_b64 exec, exec, s[0:1]
	s_cbranch_execz .LBB4_9
; %bb.7:
	v_mov_b32_e32 v2, 0
	v_lshlrev_b64 v[3:4], 1, v[1:2]
	s_add_u32 s0, s8, s2
	s_addc_u32 s1, s9, s3
	v_mov_b32_e32 v5, s1
	v_add_co_u32_e32 v3, vcc, s0, v3
	v_addc_co_u32_e32 v4, vcc, v5, v4, vcc
	s_lshl_b32 s7, s20, 1
	s_mov_b64 s[16:17], 0
	v_mov_b32_e32 v5, s13
	s_mov_b32 s18, 0x42fe0000
	v_mov_b32_e32 v6, 0x42fe0000
	s_mov_b32 s19, 0xc3000000
	v_mov_b32_e32 v7, 0xc3000000
.LBB4_8:                                ; =>This Inner Loop Header: Depth=1
	global_load_ushort v8, v[3:4], off
	s_waitcnt vmcnt(0)
	v_lshlrev_b32_e32 v10, 16, v8
	s_waitcnt lgkmcnt(0)
	v_div_scale_f32 v8, s[0:1], s21, s21, v10
	v_div_scale_f32 v9, vcc, v10, s21, v10
	v_rcp_f32_e32 v11, v8
	v_fma_f32 v12, -v8, v11, 1.0
	v_fmac_f32_e32 v11, v12, v11
	v_mul_f32_e32 v12, v9, v11
	v_fma_f32 v13, -v8, v12, v9
	v_fmac_f32_e32 v12, v13, v11
	v_fma_f32 v8, -v8, v12, v9
	v_div_fmas_f32 v11, v8, v11, v12
	v_add_co_u32_e32 v8, vcc, s12, v1
	v_addc_co_u32_e32 v9, vcc, v5, v2, vcc
	v_add_co_u32_e32 v1, vcc, s20, v1
	v_addc_co_u32_e32 v2, vcc, 0, v2, vcc
	v_add_co_u32_e32 v3, vcc, s7, v3
	v_addc_co_u32_e32 v4, vcc, 0, v4, vcc
	v_cmp_le_i32_e32 vcc, s6, v1
	s_or_b64 s[16:17], vcc, s[16:17]
	v_div_fixup_f32 v10, v11, s21, v10
	v_rndne_f32_e32 v10, v10
	v_cmp_nlt_f32_e64 s[0:1], s18, v10
	v_cndmask_b32_e64 v11, v6, v10, s[0:1]
	v_cmp_ngt_f32_e64 s[0:1], s19, v10
	v_cndmask_b32_e64 v10, v7, v11, s[0:1]
	v_cvt_i32_f32_e32 v10, v10
	global_store_byte v[8:9], v10, off
	s_andn2_b64 exec, exec, s[16:17]
	s_cbranch_execnz .LBB4_8
.LBB4_9:
	s_or_b64 exec, exec, s[14:15]
	s_sub_i32 s18, s22, s6
	s_ashr_i32 s0, s18, 31
	s_lshr_b32 s0, s0, 28
	s_add_i32 s0, s18, s0
	s_ashr_i32 s16, s0, 4
	s_ashr_i32 s7, s6, 31
	v_cmp_gt_i32_e32 vcc, s16, v0
	s_and_saveexec_b64 s[0:1], vcc
	s_cbranch_execz .LBB4_12
; %bb.10:
	s_add_u32 s14, s6, s4
	s_addc_u32 s15, s7, s5
	s_add_u32 s14, s10, s14
	v_lshlrev_b32_e32 v1, 4, v0
	s_addc_u32 s15, s11, s15
	v_mov_b32_e32 v2, s15
	v_add_co_u32_e32 v1, vcc, s14, v1
	s_lshl_b32 s17, s20, 4
	s_lshl_b64 s[14:15], s[6:7], 1
	s_add_u32 s14, s8, s14
	v_addc_co_u32_e32 v2, vcc, 0, v2, vcc
	s_addc_u32 s15, s9, s15
	v_add_co_u32_e32 v9, vcc, 7, v1
	s_add_u32 s14, s14, s2
	v_addc_co_u32_e32 v10, vcc, 0, v2, vcc
	v_lshlrev_b32_e32 v1, 5, v0
	s_addc_u32 s15, s15, s3
	v_mov_b32_e32 v2, s15
	v_add_co_u32_e32 v11, vcc, s14, v1
	v_addc_co_u32_e32 v12, vcc, 0, v2, vcc
	s_lshl_b32 s19, s20, 5
	s_mov_b64 s[14:15], 0
	s_mov_b32 s25, 0x42fe0000
	v_mov_b32_e32 v13, 0x42fe0000
	s_mov_b32 s26, 0xc3000000
	v_mov_b32_e32 v14, 0xc3000000
	v_mov_b32_e32 v15, v0
.LBB4_11:                               ; =>This Inner Loop Header: Depth=1
	global_load_dwordx4 v[5:8], v[11:12], off
	global_load_dwordx4 v[1:4], v[11:12], off offset:16
	v_add_u32_e32 v15, s20, v15
	s_waitcnt vmcnt(1)
	v_lshlrev_b32_e32 v16, 16, v5
	s_waitcnt lgkmcnt(0)
	v_div_scale_f32 v17, s[28:29], s21, s21, v16
	v_and_b32_e32 v5, 0xffff0000, v5
	v_rcp_f32_e32 v18, v17
	v_fma_f32 v19, -v17, v18, 1.0
	v_fmac_f32_e32 v18, v19, v18
	v_div_scale_f32 v19, vcc, v16, s21, v16
	v_mul_f32_e32 v20, v19, v18
	v_fma_f32 v21, -v17, v20, v19
	v_fmac_f32_e32 v20, v21, v18
	v_fma_f32 v17, -v17, v20, v19
	v_div_fmas_f32 v17, v17, v18, v20
	v_div_fixup_f32 v16, v17, s21, v16
	v_rndne_f32_e32 v16, v16
	v_cmp_nlt_f32_e32 vcc, s25, v16
	v_cndmask_b32_e32 v17, v13, v16, vcc
	v_cmp_ngt_f32_e32 vcc, s26, v16
	v_cndmask_b32_e32 v16, v14, v17, vcc
	v_div_scale_f32 v17, s[28:29], s21, s21, v5
	v_cvt_i32_f32_e32 v16, v16
	v_rcp_f32_e32 v18, v17
	v_fma_f32 v19, -v17, v18, 1.0
	v_fmac_f32_e32 v18, v19, v18
	v_div_scale_f32 v19, vcc, v5, s21, v5
	v_mul_f32_e32 v20, v19, v18
	v_fma_f32 v21, -v17, v20, v19
	v_fmac_f32_e32 v20, v21, v18
	v_fma_f32 v17, -v17, v20, v19
	v_div_fmas_f32 v17, v17, v18, v20
	v_div_fixup_f32 v5, v17, s21, v5
	v_rndne_f32_e32 v5, v5
	v_cmp_nlt_f32_e32 vcc, s25, v5
	v_cndmask_b32_e32 v17, v13, v5, vcc
	v_cmp_ngt_f32_e32 vcc, s26, v5
	v_cndmask_b32_e32 v5, v14, v17, vcc
	v_lshlrev_b32_e32 v17, 16, v6
	v_div_scale_f32 v18, s[28:29], s21, s21, v17
	v_and_b32_e32 v6, 0xffff0000, v6
	v_cvt_i32_f32_sdwa v5, v5 dst_sel:BYTE_1 dst_unused:UNUSED_PAD src0_sel:DWORD
	v_rcp_f32_e32 v19, v18
	v_fma_f32 v20, -v18, v19, 1.0
	v_fmac_f32_e32 v19, v20, v19
	v_div_scale_f32 v20, vcc, v17, s21, v17
	v_mul_f32_e32 v21, v20, v19
	v_fma_f32 v22, -v18, v21, v20
	v_fmac_f32_e32 v21, v22, v19
	v_fma_f32 v18, -v18, v21, v20
	v_div_fmas_f32 v18, v18, v19, v21
	v_div_fixup_f32 v17, v18, s21, v17
	v_rndne_f32_e32 v17, v17
	v_cmp_nlt_f32_e32 vcc, s25, v17
	v_cndmask_b32_e32 v18, v13, v17, vcc
	v_cmp_ngt_f32_e32 vcc, s26, v17
	v_cndmask_b32_e32 v17, v14, v18, vcc
	v_div_scale_f32 v18, s[28:29], s21, s21, v6
	v_cvt_i32_f32_e32 v17, v17
	v_rcp_f32_e32 v19, v18
	v_fma_f32 v20, -v18, v19, 1.0
	v_fmac_f32_e32 v19, v20, v19
	v_div_scale_f32 v20, vcc, v6, s21, v6
	v_mul_f32_e32 v21, v20, v19
	v_fma_f32 v22, -v18, v21, v20
	v_fmac_f32_e32 v21, v22, v19
	v_fma_f32 v18, -v18, v21, v20
	v_div_fmas_f32 v18, v18, v19, v21
	v_div_fixup_f32 v6, v18, s21, v6
	v_rndne_f32_e32 v6, v6
	v_cmp_nlt_f32_e32 vcc, s25, v6
	v_cndmask_b32_e32 v18, v13, v6, vcc
	v_cmp_ngt_f32_e32 vcc, s26, v6
	v_cndmask_b32_e32 v6, v14, v18, vcc
	v_lshlrev_b32_e32 v18, 16, v7
	v_div_scale_f32 v19, s[28:29], s21, s21, v18
	v_and_b32_e32 v7, 0xffff0000, v7
	v_cvt_i32_f32_sdwa v6, v6 dst_sel:BYTE_1 dst_unused:UNUSED_PAD src0_sel:DWORD
	;; [unrolled: 36-line block ×3, first 2 shown]
	v_rcp_f32_e32 v21, v20
	v_fma_f32 v22, -v20, v21, 1.0
	v_fmac_f32_e32 v21, v22, v21
	v_div_scale_f32 v22, vcc, v19, s21, v19
	v_mul_f32_e32 v23, v22, v21
	v_fma_f32 v24, -v20, v23, v22
	v_fmac_f32_e32 v23, v24, v21
	v_fma_f32 v20, -v20, v23, v22
	v_div_fmas_f32 v20, v20, v21, v23
	v_div_fixup_f32 v19, v20, s21, v19
	v_rndne_f32_e32 v19, v19
	v_cmp_nlt_f32_e32 vcc, s25, v19
	v_cndmask_b32_e32 v20, v13, v19, vcc
	v_cmp_ngt_f32_e32 vcc, s26, v19
	v_cndmask_b32_e32 v19, v14, v20, vcc
	v_div_scale_f32 v20, s[28:29], s21, s21, v8
	v_cvt_i32_f32_e32 v19, v19
	v_rcp_f32_e32 v21, v20
	v_fma_f32 v22, -v20, v21, 1.0
	v_fmac_f32_e32 v21, v22, v21
	v_div_scale_f32 v22, vcc, v8, s21, v8
	v_mul_f32_e32 v23, v22, v21
	v_fma_f32 v24, -v20, v23, v22
	v_fmac_f32_e32 v23, v24, v21
	v_fma_f32 v20, -v20, v23, v22
	v_div_fmas_f32 v20, v20, v21, v23
	v_div_fixup_f32 v8, v20, s21, v8
	v_rndne_f32_e32 v8, v8
	v_cmp_nlt_f32_e32 vcc, s25, v8
	v_cndmask_b32_e32 v20, v13, v8, vcc
	v_cmp_ngt_f32_e32 vcc, s26, v8
	v_cndmask_b32_e32 v8, v14, v20, vcc
	s_waitcnt vmcnt(0)
	v_lshlrev_b32_e32 v20, 16, v1
	v_div_scale_f32 v21, s[28:29], s21, s21, v20
	v_and_b32_e32 v1, 0xffff0000, v1
	v_cvt_i32_f32_sdwa v8, v8 dst_sel:BYTE_1 dst_unused:UNUSED_PAD src0_sel:DWORD
	v_rcp_f32_e32 v22, v21
	v_fma_f32 v23, -v21, v22, 1.0
	v_fmac_f32_e32 v22, v23, v22
	v_div_scale_f32 v23, vcc, v20, s21, v20
	v_mul_f32_e32 v24, v23, v22
	v_fma_f32 v25, -v21, v24, v23
	v_fmac_f32_e32 v24, v25, v22
	v_fma_f32 v21, -v21, v24, v23
	v_div_fmas_f32 v21, v21, v22, v24
	v_div_fixup_f32 v20, v21, s21, v20
	v_rndne_f32_e32 v20, v20
	v_cmp_nlt_f32_e32 vcc, s25, v20
	v_cndmask_b32_e32 v21, v13, v20, vcc
	v_cmp_ngt_f32_e32 vcc, s26, v20
	v_cndmask_b32_e32 v20, v14, v21, vcc
	v_div_scale_f32 v21, s[28:29], s21, s21, v1
	v_cvt_i32_f32_e32 v20, v20
	v_rcp_f32_e32 v22, v21
	v_fma_f32 v23, -v21, v22, 1.0
	v_fmac_f32_e32 v22, v23, v22
	v_div_scale_f32 v23, vcc, v1, s21, v1
	v_mul_f32_e32 v24, v23, v22
	v_fma_f32 v25, -v21, v24, v23
	v_fmac_f32_e32 v24, v25, v22
	v_fma_f32 v21, -v21, v24, v23
	v_div_fmas_f32 v21, v21, v22, v24
	v_div_fixup_f32 v1, v21, s21, v1
	v_rndne_f32_e32 v1, v1
	v_cmp_nlt_f32_e32 vcc, s25, v1
	v_cndmask_b32_e32 v21, v13, v1, vcc
	v_cmp_ngt_f32_e32 vcc, s26, v1
	v_cndmask_b32_e32 v1, v14, v21, vcc
	v_lshlrev_b32_e32 v21, 16, v2
	v_div_scale_f32 v22, s[28:29], s21, s21, v21
	v_and_b32_e32 v2, 0xffff0000, v2
	v_cvt_i32_f32_sdwa v1, v1 dst_sel:BYTE_1 dst_unused:UNUSED_PAD src0_sel:DWORD
	v_or_b32_sdwa v1, v20, v1 dst_sel:DWORD dst_unused:UNUSED_PAD src0_sel:BYTE_0 src1_sel:DWORD
	v_rcp_f32_e32 v23, v22
	v_fma_f32 v24, -v22, v23, 1.0
	v_fmac_f32_e32 v23, v24, v23
	v_div_scale_f32 v24, vcc, v21, s21, v21
	v_mul_f32_e32 v25, v24, v23
	v_fma_f32 v26, -v22, v25, v24
	v_fmac_f32_e32 v25, v26, v23
	v_fma_f32 v22, -v22, v25, v24
	v_div_fmas_f32 v22, v22, v23, v25
	v_div_fixup_f32 v21, v22, s21, v21
	v_rndne_f32_e32 v21, v21
	v_cmp_nlt_f32_e32 vcc, s25, v21
	v_cndmask_b32_e32 v22, v13, v21, vcc
	v_cmp_ngt_f32_e32 vcc, s26, v21
	v_cndmask_b32_e32 v21, v14, v22, vcc
	v_div_scale_f32 v22, s[28:29], s21, s21, v2
	v_cvt_i32_f32_e32 v21, v21
	v_rcp_f32_e32 v23, v22
	v_fma_f32 v24, -v22, v23, 1.0
	v_fmac_f32_e32 v23, v24, v23
	v_div_scale_f32 v24, vcc, v2, s21, v2
	v_mul_f32_e32 v25, v24, v23
	v_fma_f32 v26, -v22, v25, v24
	v_fmac_f32_e32 v25, v26, v23
	v_fma_f32 v22, -v22, v25, v24
	v_div_fmas_f32 v22, v22, v23, v25
	v_div_fixup_f32 v2, v22, s21, v2
	v_rndne_f32_e32 v2, v2
	v_cmp_nlt_f32_e32 vcc, s25, v2
	v_cndmask_b32_e32 v22, v13, v2, vcc
	v_cmp_ngt_f32_e32 vcc, s26, v2
	v_cndmask_b32_e32 v2, v14, v22, vcc
	v_lshlrev_b32_e32 v22, 16, v3
	v_div_scale_f32 v23, s[28:29], s21, s21, v22
	v_and_b32_e32 v3, 0xffff0000, v3
	v_cvt_i32_f32_sdwa v2, v2 dst_sel:BYTE_1 dst_unused:UNUSED_PAD src0_sel:DWORD
	v_or_b32_sdwa v2, v21, v2 dst_sel:WORD_1 dst_unused:UNUSED_PAD src0_sel:BYTE_0 src1_sel:DWORD
	v_rcp_f32_e32 v24, v23
	v_fma_f32 v25, -v23, v24, 1.0
	v_fmac_f32_e32 v24, v25, v24
	v_div_scale_f32 v25, vcc, v22, s21, v22
	v_mul_f32_e32 v26, v25, v24
	v_fma_f32 v27, -v23, v26, v25
	v_fmac_f32_e32 v26, v27, v24
	v_fma_f32 v23, -v23, v26, v25
	v_div_fmas_f32 v23, v23, v24, v26
	v_div_fixup_f32 v22, v23, s21, v22
	v_rndne_f32_e32 v22, v22
	v_cmp_nlt_f32_e32 vcc, s25, v22
	v_cndmask_b32_e32 v23, v13, v22, vcc
	v_cmp_ngt_f32_e32 vcc, s26, v22
	v_cndmask_b32_e32 v22, v14, v23, vcc
	v_div_scale_f32 v23, s[28:29], s21, s21, v3
	v_cvt_i32_f32_e32 v22, v22
	v_rcp_f32_e32 v24, v23
	v_fma_f32 v25, -v23, v24, 1.0
	v_fmac_f32_e32 v24, v25, v24
	v_div_scale_f32 v25, vcc, v3, s21, v3
	v_mul_f32_e32 v26, v25, v24
	v_fma_f32 v27, -v23, v26, v25
	v_fmac_f32_e32 v26, v27, v24
	v_fma_f32 v23, -v23, v26, v25
	v_div_fmas_f32 v23, v23, v24, v26
	v_div_fixup_f32 v3, v23, s21, v3
	v_rndne_f32_e32 v3, v3
	v_cmp_nlt_f32_e32 vcc, s25, v3
	v_cndmask_b32_e32 v23, v13, v3, vcc
	v_cmp_ngt_f32_e32 vcc, s26, v3
	v_cndmask_b32_e32 v3, v14, v23, vcc
	v_lshlrev_b32_e32 v23, 16, v4
	v_div_scale_f32 v24, s[28:29], s21, s21, v23
	v_and_b32_e32 v4, 0xffff0000, v4
	v_cvt_i32_f32_sdwa v3, v3 dst_sel:BYTE_1 dst_unused:UNUSED_PAD src0_sel:DWORD
	v_or_b32_sdwa v3, v22, v3 dst_sel:DWORD dst_unused:UNUSED_PAD src0_sel:BYTE_0 src1_sel:DWORD
	v_rcp_f32_e32 v25, v24
	v_fma_f32 v26, -v24, v25, 1.0
	v_fmac_f32_e32 v25, v26, v25
	v_div_scale_f32 v26, vcc, v23, s21, v23
	v_mul_f32_e32 v27, v26, v25
	v_fma_f32 v28, -v24, v27, v26
	v_fmac_f32_e32 v27, v28, v25
	v_fma_f32 v24, -v24, v27, v26
	v_div_fmas_f32 v24, v24, v25, v27
	v_div_fixup_f32 v23, v24, s21, v23
	v_rndne_f32_e32 v23, v23
	v_cmp_nlt_f32_e32 vcc, s25, v23
	v_cndmask_b32_e32 v24, v13, v23, vcc
	v_cmp_ngt_f32_e32 vcc, s26, v23
	v_cndmask_b32_e32 v23, v14, v24, vcc
	v_div_scale_f32 v24, s[28:29], s21, s21, v4
	v_cvt_i32_f32_e32 v23, v23
	v_rcp_f32_e32 v25, v24
	v_fma_f32 v26, -v24, v25, 1.0
	v_fmac_f32_e32 v25, v26, v25
	v_div_scale_f32 v26, vcc, v4, s21, v4
	v_mul_f32_e32 v27, v26, v25
	v_fma_f32 v28, -v24, v27, v26
	v_fmac_f32_e32 v27, v28, v25
	v_fma_f32 v24, -v24, v27, v26
	v_div_fmas_f32 v24, v24, v25, v27
	v_div_fixup_f32 v4, v24, s21, v4
	v_rndne_f32_e32 v4, v4
	v_cmp_nlt_f32_e32 vcc, s25, v4
	v_cndmask_b32_e32 v24, v13, v4, vcc
	v_cmp_ngt_f32_e32 vcc, s26, v4
	v_cndmask_b32_e32 v4, v14, v24, vcc
	v_cvt_i32_f32_sdwa v4, v4 dst_sel:BYTE_1 dst_unused:UNUSED_PAD src0_sel:DWORD
	v_or_b32_sdwa v4, v23, v4 dst_sel:WORD_1 dst_unused:UNUSED_PAD src0_sel:BYTE_0 src1_sel:DWORD
	v_or_b32_sdwa v4, v3, v4 dst_sel:DWORD dst_unused:UNUSED_PAD src0_sel:WORD_0 src1_sel:DWORD
	v_or_b32_sdwa v3, v1, v2 dst_sel:DWORD dst_unused:UNUSED_PAD src0_sel:WORD_0 src1_sel:DWORD
	v_or_b32_sdwa v1, v18, v7 dst_sel:DWORD dst_unused:UNUSED_PAD src0_sel:BYTE_0 src1_sel:DWORD
	v_or_b32_sdwa v2, v19, v8 dst_sel:WORD_1 dst_unused:UNUSED_PAD src0_sel:BYTE_0 src1_sel:DWORD
	v_or_b32_sdwa v2, v1, v2 dst_sel:DWORD dst_unused:UNUSED_PAD src0_sel:WORD_0 src1_sel:DWORD
	v_or_b32_sdwa v1, v16, v5 dst_sel:DWORD dst_unused:UNUSED_PAD src0_sel:BYTE_0 src1_sel:DWORD
	v_or_b32_sdwa v5, v17, v6 dst_sel:WORD_1 dst_unused:UNUSED_PAD src0_sel:BYTE_0 src1_sel:DWORD
	v_or_b32_sdwa v1, v1, v5 dst_sel:DWORD dst_unused:UNUSED_PAD src0_sel:WORD_0 src1_sel:DWORD
	global_store_dwordx4 v[9:10], v[1:4], off offset:-7
	v_add_co_u32_e32 v9, vcc, s17, v9
	v_addc_co_u32_e32 v10, vcc, 0, v10, vcc
	v_add_co_u32_e32 v11, vcc, s19, v11
	v_addc_co_u32_e32 v12, vcc, 0, v12, vcc
	v_cmp_le_i32_e32 vcc, s16, v15
	s_or_b64 s[14:15], vcc, s[14:15]
	s_andn2_b64 exec, exec, s[14:15]
	s_cbranch_execnz .LBB4_11
.LBB4_12:
	s_or_b64 exec, exec, s[0:1]
	v_lshl_add_u32 v1, s16, 4, v0
	v_cmp_gt_i32_e32 vcc, s18, v1
	s_and_saveexec_b64 s[14:15], vcc
	s_cbranch_execz .LBB4_20
; %bb.13:
	s_add_u32 s19, s12, s6
	v_add_u32_e32 v2, 1, v1
	s_addc_u32 s25, s13, s7
	v_max_i32_e32 v2, s18, v2
	s_and_b32 s0, s20, 0xffff
	v_sub_u32_e32 v4, v2, v1
	s_cmp_eq_u32 s0, 1
	v_cmp_lt_u32_e32 vcc, 1, v4
	s_cselect_b64 s[0:1], -1, 0
	s_and_b64 s[16:17], vcc, s[0:1]
	s_mov_b64 s[0:1], -1
	s_and_saveexec_b64 s[12:13], s[16:17]
	s_cbranch_execz .LBB4_17
; %bb.14:
	s_lshl_b64 s[0:1], s[6:7], 1
	s_add_u32 s23, s23, s0
	s_addc_u32 s0, s24, s1
	v_and_b32_e32 v5, -2, v4
	s_waitcnt lgkmcnt(0)
	s_mov_b32 s24, s21
	s_mov_b64 s[16:17], 0
	v_mov_b32_e32 v6, s25
	v_mov_b32_e32 v7, s0
	s_mov_b32 s26, 0x42fe0000
	v_mov_b32_e32 v8, 0x42fe0000
	s_mov_b32 s27, 0xc3000000
	v_mov_b32_e32 v9, 0xc3000000
	v_mov_b32_e32 v2, v1
	;; [unrolled: 1-line block ×3, first 2 shown]
.LBB4_15:                               ; =>This Inner Loop Header: Depth=1
	v_ashrrev_i32_e32 v3, 31, v2
	v_lshlrev_b64 v[11:12], 1, v[2:3]
	v_add_u32_e32 v10, -2, v10
	v_add_co_u32_e32 v11, vcc, s23, v11
	v_addc_co_u32_e32 v12, vcc, v7, v12, vcc
	global_load_dword v11, v[11:12], off
	s_waitcnt vmcnt(0)
	v_lshlrev_b32_e32 v12, 16, v11
	v_and_b32_e32 v11, 0xffff0000, v11
	v_div_scale_f32 v13, s[0:1], s24, s24, v11
	v_div_scale_f32 v14, s[0:1], s21, s21, v12
	v_div_scale_f32 v15, vcc, v11, s24, v11
	v_div_scale_f32 v16, s[0:1], v12, s21, v12
	v_rcp_f32_e32 v17, v13
	v_rcp_f32_e32 v18, v14
	v_fma_f32 v19, -v13, v17, 1.0
	v_fmac_f32_e32 v17, v19, v17
	v_fma_f32 v20, -v14, v18, 1.0
	v_fmac_f32_e32 v18, v20, v18
	v_mul_f32_e32 v19, v15, v17
	v_mul_f32_e32 v20, v16, v18
	v_fma_f32 v21, -v13, v19, v15
	v_fma_f32 v22, -v14, v20, v16
	v_fmac_f32_e32 v19, v21, v17
	v_fmac_f32_e32 v20, v22, v18
	v_fma_f32 v13, -v13, v19, v15
	v_fma_f32 v14, -v14, v20, v16
	v_div_fmas_f32 v13, v13, v17, v19
	s_mov_b64 vcc, s[0:1]
	v_div_fmas_f32 v14, v14, v18, v20
	v_div_fixup_f32 v11, v13, s24, v11
	v_rndne_f32_e32 v11, v11
	v_div_fixup_f32 v12, v14, s21, v12
	v_rndne_f32_e32 v12, v12
	v_cmp_nlt_f32_e32 vcc, s26, v11
	v_cndmask_b32_e32 v13, v8, v11, vcc
	v_cmp_nlt_f32_e32 vcc, s26, v12
	v_cndmask_b32_e32 v14, v8, v12, vcc
	v_cmp_ngt_f32_e32 vcc, s27, v11
	v_cndmask_b32_e32 v11, v9, v13, vcc
	v_cmp_ngt_f32_e32 vcc, s27, v12
	v_cndmask_b32_e32 v12, v9, v14, vcc
	v_cvt_i32_f32_sdwa v13, v11 dst_sel:BYTE_1 dst_unused:UNUSED_PAD src0_sel:DWORD
	v_cvt_i32_f32_e32 v14, v12
	v_add_co_u32_e32 v11, vcc, s19, v2
	v_addc_co_u32_e32 v12, vcc, v6, v3, vcc
	v_cmp_eq_u32_e32 vcc, 0, v10
	s_or_b64 s[16:17], vcc, s[16:17]
	v_or_b32_sdwa v3, v14, v13 dst_sel:DWORD dst_unused:UNUSED_PAD src0_sel:BYTE_0 src1_sel:DWORD
	v_add_u32_e32 v2, 2, v2
	global_store_short v[11:12], v3, off
	s_andn2_b64 exec, exec, s[16:17]
	s_cbranch_execnz .LBB4_15
; %bb.16:
	s_or_b64 exec, exec, s[16:17]
	v_cmp_ne_u32_e32 vcc, v4, v5
	v_add_u32_e32 v1, v1, v5
	s_orn2_b64 s[0:1], vcc, exec
.LBB4_17:
	s_or_b64 exec, exec, s[12:13]
	s_and_b64 exec, exec, s[0:1]
	s_cbranch_execz .LBB4_20
; %bb.18:
	s_lshl_b64 s[0:1], s[6:7], 1
	s_add_u32 s0, s2, s0
	v_ashrrev_i32_e32 v2, 31, v1
	s_addc_u32 s1, s3, s1
	v_lshlrev_b64 v[3:4], 1, v[1:2]
	s_add_u32 s0, s8, s0
	s_addc_u32 s1, s9, s1
	v_mov_b32_e32 v5, s1
	v_add_co_u32_e32 v3, vcc, s0, v3
	v_addc_co_u32_e32 v4, vcc, v5, v4, vcc
	s_lshl_b32 s12, s20, 1
	s_mov_b64 s[6:7], 0
	v_mov_b32_e32 v5, s25
	s_mov_b32 s13, 0x42fe0000
	v_mov_b32_e32 v6, 0x42fe0000
	s_mov_b32 s16, 0xc3000000
	v_mov_b32_e32 v7, 0xc3000000
.LBB4_19:                               ; =>This Inner Loop Header: Depth=1
	global_load_ushort v8, v[3:4], off
	s_waitcnt vmcnt(0)
	v_lshlrev_b32_e32 v10, 16, v8
	s_waitcnt lgkmcnt(0)
	v_div_scale_f32 v8, s[0:1], s21, s21, v10
	v_div_scale_f32 v9, vcc, v10, s21, v10
	v_rcp_f32_e32 v11, v8
	v_fma_f32 v12, -v8, v11, 1.0
	v_fmac_f32_e32 v11, v12, v11
	v_mul_f32_e32 v12, v9, v11
	v_fma_f32 v13, -v8, v12, v9
	v_fmac_f32_e32 v12, v13, v11
	v_fma_f32 v8, -v8, v12, v9
	v_div_fmas_f32 v11, v8, v11, v12
	v_add_co_u32_e32 v8, vcc, s19, v1
	v_addc_co_u32_e32 v9, vcc, v5, v2, vcc
	v_add_co_u32_e32 v1, vcc, s20, v1
	v_addc_co_u32_e32 v2, vcc, 0, v2, vcc
	;; [unrolled: 2-line block ×3, first 2 shown]
	v_cmp_le_i32_e32 vcc, s18, v1
	s_or_b64 s[6:7], vcc, s[6:7]
	v_div_fixup_f32 v10, v11, s21, v10
	v_rndne_f32_e32 v10, v10
	v_cmp_nlt_f32_e64 s[0:1], s13, v10
	v_cndmask_b32_e64 v11, v6, v10, s[0:1]
	v_cmp_ngt_f32_e64 s[0:1], s16, v10
	v_cndmask_b32_e64 v10, v7, v11, s[0:1]
	v_cvt_i32_f32_e32 v10, v10
	global_store_byte v[8:9], v10, off
	s_andn2_b64 exec, exec, s[6:7]
	s_cbranch_execnz .LBB4_19
.LBB4_20:
	s_or_b64 exec, exec, s[14:15]
	s_mov_b64 s[0:1], 0
.LBB4_21:
	s_and_b64 vcc, exec, s[0:1]
	s_cbranch_vccz .LBB4_25
; %bb.22:
	s_ashr_i32 s6, s22, 4
	v_cmp_gt_i32_e32 vcc, s6, v0
	s_and_saveexec_b64 s[0:1], vcc
	s_cbranch_execz .LBB4_25
; %bb.23:
	s_add_u32 s0, s10, s4
	v_lshlrev_b32_e32 v1, 4, v0
	s_addc_u32 s1, s11, s5
	v_mov_b32_e32 v2, s1
	v_add_co_u32_e32 v1, vcc, s0, v1
	v_addc_co_u32_e32 v2, vcc, 0, v2, vcc
	s_lshl_b32 s4, s20, 4
	v_add_co_u32_e32 v9, vcc, 7, v1
	s_add_u32 s0, s8, s2
	v_addc_co_u32_e32 v10, vcc, 0, v2, vcc
	v_lshlrev_b32_e32 v1, 5, v0
	s_addc_u32 s1, s9, s3
	v_mov_b32_e32 v2, s1
	v_add_co_u32_e32 v11, vcc, s0, v1
	v_addc_co_u32_e32 v12, vcc, 0, v2, vcc
	s_lshl_b32 s2, s20, 5
	s_mov_b64 s[0:1], 0
	s_mov_b32 s3, 0x42fe0000
	v_mov_b32_e32 v13, 0x42fe0000
	s_mov_b32 s5, 0xc3000000
	v_mov_b32_e32 v14, 0xc3000000
.LBB4_24:                               ; =>This Inner Loop Header: Depth=1
	global_load_dwordx4 v[5:8], v[11:12], off
	global_load_dwordx4 v[1:4], v[11:12], off offset:16
	v_add_u32_e32 v0, s20, v0
	s_waitcnt vmcnt(1)
	v_lshlrev_b32_e32 v15, 16, v5
	s_waitcnt lgkmcnt(0)
	v_div_scale_f32 v16, s[8:9], s21, s21, v15
	v_and_b32_e32 v5, 0xffff0000, v5
	v_rcp_f32_e32 v17, v16
	v_fma_f32 v18, -v16, v17, 1.0
	v_fmac_f32_e32 v17, v18, v17
	v_div_scale_f32 v18, vcc, v15, s21, v15
	v_mul_f32_e32 v19, v18, v17
	v_fma_f32 v20, -v16, v19, v18
	v_fmac_f32_e32 v19, v20, v17
	v_fma_f32 v16, -v16, v19, v18
	v_div_fmas_f32 v16, v16, v17, v19
	v_div_fixup_f32 v15, v16, s21, v15
	v_rndne_f32_e32 v15, v15
	v_cmp_nlt_f32_e32 vcc, s3, v15
	v_cndmask_b32_e32 v16, v13, v15, vcc
	v_cmp_ngt_f32_e32 vcc, s5, v15
	v_cndmask_b32_e32 v15, v14, v16, vcc
	v_div_scale_f32 v16, s[8:9], s21, s21, v5
	v_cvt_i32_f32_e32 v15, v15
	v_rcp_f32_e32 v17, v16
	v_fma_f32 v18, -v16, v17, 1.0
	v_fmac_f32_e32 v17, v18, v17
	v_div_scale_f32 v18, vcc, v5, s21, v5
	v_mul_f32_e32 v19, v18, v17
	v_fma_f32 v20, -v16, v19, v18
	v_fmac_f32_e32 v19, v20, v17
	v_fma_f32 v16, -v16, v19, v18
	v_div_fmas_f32 v16, v16, v17, v19
	v_div_fixup_f32 v5, v16, s21, v5
	v_rndne_f32_e32 v5, v5
	v_cmp_nlt_f32_e32 vcc, s3, v5
	v_cndmask_b32_e32 v16, v13, v5, vcc
	v_cmp_ngt_f32_e32 vcc, s5, v5
	v_cndmask_b32_e32 v5, v14, v16, vcc
	v_lshlrev_b32_e32 v16, 16, v6
	v_div_scale_f32 v17, s[8:9], s21, s21, v16
	v_and_b32_e32 v6, 0xffff0000, v6
	v_cvt_i32_f32_sdwa v5, v5 dst_sel:BYTE_1 dst_unused:UNUSED_PAD src0_sel:DWORD
	v_rcp_f32_e32 v18, v17
	v_fma_f32 v19, -v17, v18, 1.0
	v_fmac_f32_e32 v18, v19, v18
	v_div_scale_f32 v19, vcc, v16, s21, v16
	v_mul_f32_e32 v20, v19, v18
	v_fma_f32 v21, -v17, v20, v19
	v_fmac_f32_e32 v20, v21, v18
	v_fma_f32 v17, -v17, v20, v19
	v_div_fmas_f32 v17, v17, v18, v20
	v_div_fixup_f32 v16, v17, s21, v16
	v_rndne_f32_e32 v16, v16
	v_cmp_nlt_f32_e32 vcc, s3, v16
	v_cndmask_b32_e32 v17, v13, v16, vcc
	v_cmp_ngt_f32_e32 vcc, s5, v16
	v_cndmask_b32_e32 v16, v14, v17, vcc
	v_div_scale_f32 v17, s[8:9], s21, s21, v6
	v_cvt_i32_f32_e32 v16, v16
	v_rcp_f32_e32 v18, v17
	v_fma_f32 v19, -v17, v18, 1.0
	v_fmac_f32_e32 v18, v19, v18
	v_div_scale_f32 v19, vcc, v6, s21, v6
	v_mul_f32_e32 v20, v19, v18
	v_fma_f32 v21, -v17, v20, v19
	v_fmac_f32_e32 v20, v21, v18
	v_fma_f32 v17, -v17, v20, v19
	v_div_fmas_f32 v17, v17, v18, v20
	v_div_fixup_f32 v6, v17, s21, v6
	v_rndne_f32_e32 v6, v6
	v_cmp_nlt_f32_e32 vcc, s3, v6
	v_cndmask_b32_e32 v17, v13, v6, vcc
	v_cmp_ngt_f32_e32 vcc, s5, v6
	v_cndmask_b32_e32 v6, v14, v17, vcc
	v_lshlrev_b32_e32 v17, 16, v7
	v_div_scale_f32 v18, s[8:9], s21, s21, v17
	v_and_b32_e32 v7, 0xffff0000, v7
	v_cvt_i32_f32_sdwa v6, v6 dst_sel:BYTE_1 dst_unused:UNUSED_PAD src0_sel:DWORD
	;; [unrolled: 36-line block ×3, first 2 shown]
	v_rcp_f32_e32 v20, v19
	v_fma_f32 v21, -v19, v20, 1.0
	v_fmac_f32_e32 v20, v21, v20
	v_div_scale_f32 v21, vcc, v18, s21, v18
	v_mul_f32_e32 v22, v21, v20
	v_fma_f32 v23, -v19, v22, v21
	v_fmac_f32_e32 v22, v23, v20
	v_fma_f32 v19, -v19, v22, v21
	v_div_fmas_f32 v19, v19, v20, v22
	v_div_fixup_f32 v18, v19, s21, v18
	v_rndne_f32_e32 v18, v18
	v_cmp_nlt_f32_e32 vcc, s3, v18
	v_cndmask_b32_e32 v19, v13, v18, vcc
	v_cmp_ngt_f32_e32 vcc, s5, v18
	v_cndmask_b32_e32 v18, v14, v19, vcc
	v_div_scale_f32 v19, s[8:9], s21, s21, v8
	v_cvt_i32_f32_e32 v18, v18
	v_rcp_f32_e32 v20, v19
	v_fma_f32 v21, -v19, v20, 1.0
	v_fmac_f32_e32 v20, v21, v20
	v_div_scale_f32 v21, vcc, v8, s21, v8
	v_mul_f32_e32 v22, v21, v20
	v_fma_f32 v23, -v19, v22, v21
	v_fmac_f32_e32 v22, v23, v20
	v_fma_f32 v19, -v19, v22, v21
	v_div_fmas_f32 v19, v19, v20, v22
	v_div_fixup_f32 v8, v19, s21, v8
	v_rndne_f32_e32 v8, v8
	v_cmp_nlt_f32_e32 vcc, s3, v8
	v_cndmask_b32_e32 v19, v13, v8, vcc
	v_cmp_ngt_f32_e32 vcc, s5, v8
	v_cndmask_b32_e32 v8, v14, v19, vcc
	s_waitcnt vmcnt(0)
	v_lshlrev_b32_e32 v19, 16, v1
	v_div_scale_f32 v20, s[8:9], s21, s21, v19
	v_and_b32_e32 v1, 0xffff0000, v1
	v_cvt_i32_f32_sdwa v8, v8 dst_sel:BYTE_1 dst_unused:UNUSED_PAD src0_sel:DWORD
	v_rcp_f32_e32 v21, v20
	v_fma_f32 v22, -v20, v21, 1.0
	v_fmac_f32_e32 v21, v22, v21
	v_div_scale_f32 v22, vcc, v19, s21, v19
	v_mul_f32_e32 v23, v22, v21
	v_fma_f32 v24, -v20, v23, v22
	v_fmac_f32_e32 v23, v24, v21
	v_fma_f32 v20, -v20, v23, v22
	v_div_fmas_f32 v20, v20, v21, v23
	v_div_fixup_f32 v19, v20, s21, v19
	v_rndne_f32_e32 v19, v19
	v_cmp_nlt_f32_e32 vcc, s3, v19
	v_cndmask_b32_e32 v20, v13, v19, vcc
	v_cmp_ngt_f32_e32 vcc, s5, v19
	v_cndmask_b32_e32 v19, v14, v20, vcc
	v_div_scale_f32 v20, s[8:9], s21, s21, v1
	v_cvt_i32_f32_e32 v19, v19
	v_rcp_f32_e32 v21, v20
	v_fma_f32 v22, -v20, v21, 1.0
	v_fmac_f32_e32 v21, v22, v21
	v_div_scale_f32 v22, vcc, v1, s21, v1
	v_mul_f32_e32 v23, v22, v21
	v_fma_f32 v24, -v20, v23, v22
	v_fmac_f32_e32 v23, v24, v21
	v_fma_f32 v20, -v20, v23, v22
	v_div_fmas_f32 v20, v20, v21, v23
	v_div_fixup_f32 v1, v20, s21, v1
	v_rndne_f32_e32 v1, v1
	v_cmp_nlt_f32_e32 vcc, s3, v1
	v_cndmask_b32_e32 v20, v13, v1, vcc
	v_cmp_ngt_f32_e32 vcc, s5, v1
	v_cndmask_b32_e32 v1, v14, v20, vcc
	v_lshlrev_b32_e32 v20, 16, v2
	v_div_scale_f32 v21, s[8:9], s21, s21, v20
	v_and_b32_e32 v2, 0xffff0000, v2
	v_cvt_i32_f32_sdwa v1, v1 dst_sel:BYTE_1 dst_unused:UNUSED_PAD src0_sel:DWORD
	v_or_b32_sdwa v1, v19, v1 dst_sel:DWORD dst_unused:UNUSED_PAD src0_sel:BYTE_0 src1_sel:DWORD
	v_rcp_f32_e32 v22, v21
	v_fma_f32 v23, -v21, v22, 1.0
	v_fmac_f32_e32 v22, v23, v22
	v_div_scale_f32 v23, vcc, v20, s21, v20
	v_mul_f32_e32 v24, v23, v22
	v_fma_f32 v25, -v21, v24, v23
	v_fmac_f32_e32 v24, v25, v22
	v_fma_f32 v21, -v21, v24, v23
	v_div_fmas_f32 v21, v21, v22, v24
	v_div_fixup_f32 v20, v21, s21, v20
	v_rndne_f32_e32 v20, v20
	v_cmp_nlt_f32_e32 vcc, s3, v20
	v_cndmask_b32_e32 v21, v13, v20, vcc
	v_cmp_ngt_f32_e32 vcc, s5, v20
	v_cndmask_b32_e32 v20, v14, v21, vcc
	v_div_scale_f32 v21, s[8:9], s21, s21, v2
	v_cvt_i32_f32_e32 v20, v20
	v_rcp_f32_e32 v22, v21
	v_fma_f32 v23, -v21, v22, 1.0
	v_fmac_f32_e32 v22, v23, v22
	v_div_scale_f32 v23, vcc, v2, s21, v2
	v_mul_f32_e32 v24, v23, v22
	v_fma_f32 v25, -v21, v24, v23
	v_fmac_f32_e32 v24, v25, v22
	v_fma_f32 v21, -v21, v24, v23
	v_div_fmas_f32 v21, v21, v22, v24
	v_div_fixup_f32 v2, v21, s21, v2
	v_rndne_f32_e32 v2, v2
	v_cmp_nlt_f32_e32 vcc, s3, v2
	v_cndmask_b32_e32 v21, v13, v2, vcc
	v_cmp_ngt_f32_e32 vcc, s5, v2
	v_cndmask_b32_e32 v2, v14, v21, vcc
	v_lshlrev_b32_e32 v21, 16, v3
	v_div_scale_f32 v22, s[8:9], s21, s21, v21
	v_and_b32_e32 v3, 0xffff0000, v3
	v_cvt_i32_f32_sdwa v2, v2 dst_sel:BYTE_1 dst_unused:UNUSED_PAD src0_sel:DWORD
	v_or_b32_sdwa v2, v20, v2 dst_sel:WORD_1 dst_unused:UNUSED_PAD src0_sel:BYTE_0 src1_sel:DWORD
	v_rcp_f32_e32 v23, v22
	v_fma_f32 v24, -v22, v23, 1.0
	v_fmac_f32_e32 v23, v24, v23
	v_div_scale_f32 v24, vcc, v21, s21, v21
	v_mul_f32_e32 v25, v24, v23
	v_fma_f32 v26, -v22, v25, v24
	v_fmac_f32_e32 v25, v26, v23
	v_fma_f32 v22, -v22, v25, v24
	v_div_fmas_f32 v22, v22, v23, v25
	v_div_fixup_f32 v21, v22, s21, v21
	v_rndne_f32_e32 v21, v21
	v_cmp_nlt_f32_e32 vcc, s3, v21
	v_cndmask_b32_e32 v22, v13, v21, vcc
	v_cmp_ngt_f32_e32 vcc, s5, v21
	v_cndmask_b32_e32 v21, v14, v22, vcc
	v_div_scale_f32 v22, s[8:9], s21, s21, v3
	v_cvt_i32_f32_e32 v21, v21
	v_rcp_f32_e32 v23, v22
	v_fma_f32 v24, -v22, v23, 1.0
	v_fmac_f32_e32 v23, v24, v23
	v_div_scale_f32 v24, vcc, v3, s21, v3
	v_mul_f32_e32 v25, v24, v23
	v_fma_f32 v26, -v22, v25, v24
	v_fmac_f32_e32 v25, v26, v23
	v_fma_f32 v22, -v22, v25, v24
	v_div_fmas_f32 v22, v22, v23, v25
	v_div_fixup_f32 v3, v22, s21, v3
	v_rndne_f32_e32 v3, v3
	v_cmp_nlt_f32_e32 vcc, s3, v3
	v_cndmask_b32_e32 v22, v13, v3, vcc
	v_cmp_ngt_f32_e32 vcc, s5, v3
	v_cndmask_b32_e32 v3, v14, v22, vcc
	v_lshlrev_b32_e32 v22, 16, v4
	v_div_scale_f32 v23, s[8:9], s21, s21, v22
	v_and_b32_e32 v4, 0xffff0000, v4
	v_cvt_i32_f32_sdwa v3, v3 dst_sel:BYTE_1 dst_unused:UNUSED_PAD src0_sel:DWORD
	v_or_b32_sdwa v3, v21, v3 dst_sel:DWORD dst_unused:UNUSED_PAD src0_sel:BYTE_0 src1_sel:DWORD
	v_rcp_f32_e32 v24, v23
	v_fma_f32 v25, -v23, v24, 1.0
	v_fmac_f32_e32 v24, v25, v24
	v_div_scale_f32 v25, vcc, v22, s21, v22
	v_mul_f32_e32 v26, v25, v24
	v_fma_f32 v27, -v23, v26, v25
	v_fmac_f32_e32 v26, v27, v24
	v_fma_f32 v23, -v23, v26, v25
	v_div_fmas_f32 v23, v23, v24, v26
	v_div_fixup_f32 v22, v23, s21, v22
	v_rndne_f32_e32 v22, v22
	v_cmp_nlt_f32_e32 vcc, s3, v22
	v_cndmask_b32_e32 v23, v13, v22, vcc
	v_cmp_ngt_f32_e32 vcc, s5, v22
	v_cndmask_b32_e32 v22, v14, v23, vcc
	v_div_scale_f32 v23, s[8:9], s21, s21, v4
	v_cvt_i32_f32_e32 v22, v22
	v_rcp_f32_e32 v24, v23
	v_fma_f32 v25, -v23, v24, 1.0
	v_fmac_f32_e32 v24, v25, v24
	v_div_scale_f32 v25, vcc, v4, s21, v4
	v_mul_f32_e32 v26, v25, v24
	v_fma_f32 v27, -v23, v26, v25
	v_fmac_f32_e32 v26, v27, v24
	v_fma_f32 v23, -v23, v26, v25
	v_div_fmas_f32 v23, v23, v24, v26
	v_div_fixup_f32 v4, v23, s21, v4
	v_rndne_f32_e32 v4, v4
	v_cmp_nlt_f32_e32 vcc, s3, v4
	v_cndmask_b32_e32 v23, v13, v4, vcc
	v_cmp_ngt_f32_e32 vcc, s5, v4
	v_cndmask_b32_e32 v4, v14, v23, vcc
	v_cvt_i32_f32_sdwa v4, v4 dst_sel:BYTE_1 dst_unused:UNUSED_PAD src0_sel:DWORD
	v_or_b32_sdwa v4, v22, v4 dst_sel:WORD_1 dst_unused:UNUSED_PAD src0_sel:BYTE_0 src1_sel:DWORD
	v_or_b32_sdwa v4, v3, v4 dst_sel:DWORD dst_unused:UNUSED_PAD src0_sel:WORD_0 src1_sel:DWORD
	v_or_b32_sdwa v3, v1, v2 dst_sel:DWORD dst_unused:UNUSED_PAD src0_sel:WORD_0 src1_sel:DWORD
	v_or_b32_sdwa v1, v17, v7 dst_sel:DWORD dst_unused:UNUSED_PAD src0_sel:BYTE_0 src1_sel:DWORD
	v_or_b32_sdwa v2, v18, v8 dst_sel:WORD_1 dst_unused:UNUSED_PAD src0_sel:BYTE_0 src1_sel:DWORD
	v_or_b32_sdwa v2, v1, v2 dst_sel:DWORD dst_unused:UNUSED_PAD src0_sel:WORD_0 src1_sel:DWORD
	v_or_b32_sdwa v1, v15, v5 dst_sel:DWORD dst_unused:UNUSED_PAD src0_sel:BYTE_0 src1_sel:DWORD
	v_or_b32_sdwa v5, v16, v6 dst_sel:WORD_1 dst_unused:UNUSED_PAD src0_sel:BYTE_0 src1_sel:DWORD
	v_or_b32_sdwa v1, v1, v5 dst_sel:DWORD dst_unused:UNUSED_PAD src0_sel:WORD_0 src1_sel:DWORD
	global_store_dwordx4 v[9:10], v[1:4], off offset:-7
	v_add_co_u32_e32 v9, vcc, s4, v9
	v_addc_co_u32_e32 v10, vcc, 0, v10, vcc
	v_add_co_u32_e32 v11, vcc, s2, v11
	v_addc_co_u32_e32 v12, vcc, 0, v12, vcc
	v_cmp_le_i32_e32 vcc, s6, v0
	s_or_b64 s[0:1], vcc, s[0:1]
	s_andn2_b64 exec, exec, s[0:1]
	s_cbranch_execnz .LBB4_24
.LBB4_25:
	s_endpgm
	.section	.rodata,"a",@progbits
	.p2align	6, 0x0
	.amdhsa_kernel _ZN4vllm31static_scaled_int8_quant_kernelIN3c108BFloat16EfEEvPKT_PaPKT0_i
		.amdhsa_group_segment_fixed_size 0
		.amdhsa_private_segment_fixed_size 0
		.amdhsa_kernarg_size 288
		.amdhsa_user_sgpr_count 6
		.amdhsa_user_sgpr_private_segment_buffer 1
		.amdhsa_user_sgpr_dispatch_ptr 0
		.amdhsa_user_sgpr_queue_ptr 0
		.amdhsa_user_sgpr_kernarg_segment_ptr 1
		.amdhsa_user_sgpr_dispatch_id 0
		.amdhsa_user_sgpr_flat_scratch_init 0
		.amdhsa_user_sgpr_private_segment_size 0
		.amdhsa_uses_dynamic_stack 0
		.amdhsa_system_sgpr_private_segment_wavefront_offset 0
		.amdhsa_system_sgpr_workgroup_id_x 1
		.amdhsa_system_sgpr_workgroup_id_y 0
		.amdhsa_system_sgpr_workgroup_id_z 0
		.amdhsa_system_sgpr_workgroup_info 0
		.amdhsa_system_vgpr_workitem_id 0
		.amdhsa_next_free_vgpr 29
		.amdhsa_next_free_sgpr 30
		.amdhsa_reserve_vcc 1
		.amdhsa_reserve_flat_scratch 0
		.amdhsa_float_round_mode_32 0
		.amdhsa_float_round_mode_16_64 0
		.amdhsa_float_denorm_mode_32 3
		.amdhsa_float_denorm_mode_16_64 3
		.amdhsa_dx10_clamp 1
		.amdhsa_ieee_mode 1
		.amdhsa_fp16_overflow 0
		.amdhsa_exception_fp_ieee_invalid_op 0
		.amdhsa_exception_fp_denorm_src 0
		.amdhsa_exception_fp_ieee_div_zero 0
		.amdhsa_exception_fp_ieee_overflow 0
		.amdhsa_exception_fp_ieee_underflow 0
		.amdhsa_exception_fp_ieee_inexact 0
		.amdhsa_exception_int_div_zero 0
	.end_amdhsa_kernel
	.section	.text._ZN4vllm31static_scaled_int8_quant_kernelIN3c108BFloat16EfEEvPKT_PaPKT0_i,"axG",@progbits,_ZN4vllm31static_scaled_int8_quant_kernelIN3c108BFloat16EfEEvPKT_PaPKT0_i,comdat
.Lfunc_end4:
	.size	_ZN4vllm31static_scaled_int8_quant_kernelIN3c108BFloat16EfEEvPKT_PaPKT0_i, .Lfunc_end4-_ZN4vllm31static_scaled_int8_quant_kernelIN3c108BFloat16EfEEvPKT_PaPKT0_i
                                        ; -- End function
	.set _ZN4vllm31static_scaled_int8_quant_kernelIN3c108BFloat16EfEEvPKT_PaPKT0_i.num_vgpr, 29
	.set _ZN4vllm31static_scaled_int8_quant_kernelIN3c108BFloat16EfEEvPKT_PaPKT0_i.num_agpr, 0
	.set _ZN4vllm31static_scaled_int8_quant_kernelIN3c108BFloat16EfEEvPKT_PaPKT0_i.numbered_sgpr, 30
	.set _ZN4vllm31static_scaled_int8_quant_kernelIN3c108BFloat16EfEEvPKT_PaPKT0_i.num_named_barrier, 0
	.set _ZN4vllm31static_scaled_int8_quant_kernelIN3c108BFloat16EfEEvPKT_PaPKT0_i.private_seg_size, 0
	.set _ZN4vllm31static_scaled_int8_quant_kernelIN3c108BFloat16EfEEvPKT_PaPKT0_i.uses_vcc, 1
	.set _ZN4vllm31static_scaled_int8_quant_kernelIN3c108BFloat16EfEEvPKT_PaPKT0_i.uses_flat_scratch, 0
	.set _ZN4vllm31static_scaled_int8_quant_kernelIN3c108BFloat16EfEEvPKT_PaPKT0_i.has_dyn_sized_stack, 0
	.set _ZN4vllm31static_scaled_int8_quant_kernelIN3c108BFloat16EfEEvPKT_PaPKT0_i.has_recursion, 0
	.set _ZN4vllm31static_scaled_int8_quant_kernelIN3c108BFloat16EfEEvPKT_PaPKT0_i.has_indirect_call, 0
	.section	.AMDGPU.csdata,"",@progbits
; Kernel info:
; codeLenInByte = 5552
; TotalNumSgprs: 34
; NumVgprs: 29
; ScratchSize: 0
; MemoryBound: 0
; FloatMode: 240
; IeeeMode: 1
; LDSByteSize: 0 bytes/workgroup (compile time only)
; SGPRBlocks: 4
; VGPRBlocks: 7
; NumSGPRsForWavesPerEU: 34
; NumVGPRsForWavesPerEU: 29
; Occupancy: 8
; WaveLimiterHint : 0
; COMPUTE_PGM_RSRC2:SCRATCH_EN: 0
; COMPUTE_PGM_RSRC2:USER_SGPR: 6
; COMPUTE_PGM_RSRC2:TRAP_HANDLER: 0
; COMPUTE_PGM_RSRC2:TGID_X_EN: 1
; COMPUTE_PGM_RSRC2:TGID_Y_EN: 0
; COMPUTE_PGM_RSRC2:TGID_Z_EN: 0
; COMPUTE_PGM_RSRC2:TIDIG_COMP_CNT: 0
	.section	.text._ZN4vllm35static_scaled_int8_azp_quant_kernelIN3c108BFloat16EfiEEvPKT_PaPKT0_PKT1_i,"axG",@progbits,_ZN4vllm35static_scaled_int8_azp_quant_kernelIN3c108BFloat16EfiEEvPKT_PaPKT0_PKT1_i,comdat
	.protected	_ZN4vllm35static_scaled_int8_azp_quant_kernelIN3c108BFloat16EfiEEvPKT_PaPKT0_PKT1_i ; -- Begin function _ZN4vllm35static_scaled_int8_azp_quant_kernelIN3c108BFloat16EfiEEvPKT_PaPKT0_PKT1_i
	.globl	_ZN4vllm35static_scaled_int8_azp_quant_kernelIN3c108BFloat16EfiEEvPKT_PaPKT0_PKT1_i
	.p2align	8
	.type	_ZN4vllm35static_scaled_int8_azp_quant_kernelIN3c108BFloat16EfiEEvPKT_PaPKT0_PKT1_i,@function
_ZN4vllm35static_scaled_int8_azp_quant_kernelIN3c108BFloat16EfiEEvPKT_PaPKT0_PKT1_i: ; @_ZN4vllm35static_scaled_int8_azp_quant_kernelIN3c108BFloat16EfiEEvPKT_PaPKT0_PKT1_i
; %bb.0:
	s_load_dwordx8 s[64:71], s[4:5], 0x0
	s_mov_b32 s3, 0
	s_waitcnt lgkmcnt(0)
	s_load_dword s7, s[68:69], 0x0
	s_load_dword s86, s[4:5], 0x20
	;; [unrolled: 1-line block ×4, first 2 shown]
	s_waitcnt lgkmcnt(0)
	s_ashr_i32 s4, s86, 31
	v_div_scale_f32 v1, s[0:1], s7, s7, 1.0
	v_div_scale_f32 v2, vcc, 1.0, s7, 1.0
	s_and_b32 s33, s2, 0xffff
	s_mul_hi_u32 s2, s86, s6
	s_mul_i32 s4, s4, s6
	s_mul_i32 s70, s86, s6
	s_add_i32 s71, s2, s4
	s_lshl_b64 s[68:69], s[70:71], 1
	s_add_u32 s85, s64, s68
	s_addc_u32 s87, s65, s69
	s_add_u32 s72, s66, s70
	s_addc_u32 s73, s67, s71
	s_and_b32 s2, s85, 31
	s_cmp_lg_u64 s[2:3], 0
	v_rcp_f32_e32 v3, v1
	s_cselect_b64 s[2:3], -1, 0
	s_and_b32 s4, s86, 15
	s_cmp_lg_u32 s4, 0
	v_fma_f32 v4, -v1, v3, 1.0
	v_fmac_f32_e32 v3, v4, v3
	v_mul_f32_e32 v4, v2, v3
	v_fma_f32 v5, -v1, v4, v2
	v_fmac_f32_e32 v4, v5, v3
	v_fma_f32 v1, -v1, v4, v2
	v_div_fmas_f32 v1, v1, v3, v4
	s_cselect_b64 s[4:5], -1, 0
	s_or_b64 s[2:3], s[4:5], s[2:3]
	s_mov_b64 s[0:1], -1
	s_and_b64 vcc, exec, s[2:3]
	v_div_fixup_f32 v15, v1, s7, 1.0
	s_cbranch_vccz .LBB5_98
; %bb.1:
	s_sub_i32 s0, 0, s85
	s_bfe_u32 s0, s0, 0x40001
	s_min_i32 s74, s0, s86
	v_cmp_gt_i32_e32 vcc, s74, v0
	s_and_saveexec_b64 s[0:1], vcc
	s_cbranch_execz .LBB5_13
; %bb.2:
	v_add_u32_e32 v1, 1, v0
	v_max_i32_e32 v1, s74, v1
	s_and_b32 s2, s33, 0xffff
	v_sub_u32_e32 v3, v1, v0
	s_cmp_eq_u32 s2, 1
	v_cmp_lt_u32_e32 vcc, 1, v3
	s_cselect_b64 s[2:3], -1, 0
	s_and_b64 s[6:7], vcc, s[2:3]
	s_mov_b64 s[4:5], -1
	v_mov_b32_e32 v1, v0
	s_and_saveexec_b64 s[2:3], s[6:7]
	s_cbranch_execz .LBB5_6
; %bb.3:
	v_and_b32_e32 v4, -2, v3
	s_mov_b32 s6, s84
	s_mov_b64 s[4:5], 0
	v_mov_b32_e32 v2, 0
	v_mov_b32_e32 v5, s87
	s_mov_b32 s7, 0x4f000000
	s_mov_b32 s8, 0xcf000000
	v_mov_b32_e32 v6, 0xcf000000
	v_bfrev_b32_e32 v7, -2
	s_movk_i32 s9, 0xff80
	v_mov_b32_e32 v8, 0x7f
	v_mov_b32_e32 v1, v0
	;; [unrolled: 1-line block ×3, first 2 shown]
.LBB5_4:                                ; =>This Inner Loop Header: Depth=1
	v_lshlrev_b64 v[10:11], 1, v[1:2]
	v_add_u32_e32 v9, -2, v9
	v_add_co_u32_e32 v10, vcc, s85, v10
	v_addc_co_u32_e32 v11, vcc, v5, v11, vcc
	global_load_dword v10, v[10:11], off
	v_cmp_eq_u32_e32 vcc, 0, v9
	s_or_b64 s[4:5], vcc, s[4:5]
	s_waitcnt vmcnt(0)
	v_lshlrev_b32_e32 v11, 16, v10
	v_and_b32_e32 v10, 0xffff0000, v10
	v_mul_f32_e32 v11, v15, v11
	v_mul_f32_e32 v10, v15, v10
	v_rndne_f32_e32 v11, v11
	v_rndne_f32_e32 v10, v10
	v_cmp_nge_f32_e32 vcc, s8, v11
	v_cndmask_b32_e32 v12, v6, v11, vcc
	v_cmp_nge_f32_e32 vcc, s8, v10
	v_cvt_i32_f32_e32 v12, v12
	v_cndmask_b32_e32 v13, v6, v10, vcc
	v_cvt_i32_f32_e32 v13, v13
	v_cmp_nle_f32_e32 vcc, s7, v11
	v_cndmask_b32_e32 v11, v7, v12, vcc
	v_cmp_nle_f32_e32 vcc, s7, v10
	v_cndmask_b32_e32 v10, v7, v13, vcc
	v_add_u32_e32 v10, s6, v10
	v_add_u32_e32 v11, s84, v11
	v_med3_i32 v10, v10, s9, v8
	v_med3_i32 v11, v11, s9, v8
	v_lshlrev_b16_e32 v10, 8, v10
	v_or_b32_sdwa v10, v11, v10 dst_sel:DWORD dst_unused:UNUSED_PAD src0_sel:BYTE_0 src1_sel:DWORD
	global_store_short v1, v10, s[72:73]
	v_add_u32_e32 v1, 2, v1
	s_andn2_b64 exec, exec, s[4:5]
	s_cbranch_execnz .LBB5_4
; %bb.5:
	s_or_b64 exec, exec, s[4:5]
	v_cmp_ne_u32_e32 vcc, v3, v4
	v_add_u32_e32 v1, v0, v4
	s_orn2_b64 s[4:5], vcc, exec
.LBB5_6:
	s_or_b64 exec, exec, s[2:3]
	s_and_b64 exec, exec, s[4:5]
	s_cbranch_execz .LBB5_13
; %bb.7:
	v_mov_b32_e32 v2, 0
	v_lshlrev_b64 v[2:3], 1, v[1:2]
	s_add_u32 s2, s64, s68
	s_addc_u32 s3, s65, s69
	v_mov_b32_e32 v4, s3
	v_add_co_u32_e32 v2, vcc, s2, v2
	v_addc_co_u32_e32 v3, vcc, v4, v3, vcc
	v_mov_b32_e32 v5, s73
	v_add_co_u32_e32 v4, vcc, s72, v1
	s_lshl_b32 s10, s33, 1
	v_addc_co_u32_e32 v5, vcc, 0, v5, vcc
	s_mov_b64 s[2:3], 0
	s_mov_b32 s11, 0x4f000000
	s_mov_b32 s12, 0xcf000000
	s_movk_i32 s13, 0xff80
	v_mov_b32_e32 v6, 0x7f
	s_mov_b64 s[4:5], 0
	s_branch .LBB5_10
.LBB5_8:                                ;   in Loop: Header=BB5_10 Depth=1
	s_or_b64 exec, exec, s[8:9]
.LBB5_9:                                ;   in Loop: Header=BB5_10 Depth=1
	s_or_b64 exec, exec, s[6:7]
	v_mov_b32_e32 v9, s5
	v_add_co_u32_e32 v8, vcc, s4, v4
	v_add_u32_e32 v7, s84, v7
	v_addc_co_u32_e32 v9, vcc, v5, v9, vcc
	v_med3_i32 v7, v7, s13, v6
	s_add_u32 s4, s4, s33
	global_store_byte v[8:9], v7, off
	v_add_u32_e32 v7, s4, v1
	s_addc_u32 s5, s5, 0
	v_cmp_le_i32_e32 vcc, s74, v7
	s_or_b64 s[2:3], vcc, s[2:3]
	v_add_co_u32_e32 v2, vcc, s10, v2
	v_addc_co_u32_e32 v3, vcc, 0, v3, vcc
	s_andn2_b64 exec, exec, s[2:3]
	s_cbranch_execz .LBB5_13
.LBB5_10:                               ; =>This Inner Loop Header: Depth=1
	global_load_ushort v7, v[2:3], off
	s_waitcnt vmcnt(0)
	v_lshlrev_b32_e32 v7, 16, v7
	v_mul_f32_e32 v7, v15, v7
	v_rndne_f32_e32 v8, v7
	v_cmp_nle_f32_e32 vcc, s11, v8
	v_bfrev_b32_e32 v7, -2
	s_and_saveexec_b64 s[6:7], vcc
	s_cbranch_execz .LBB5_9
; %bb.11:                               ;   in Loop: Header=BB5_10 Depth=1
	v_cmp_nge_f32_e32 vcc, s12, v8
	v_bfrev_b32_e32 v7, 1
	s_and_saveexec_b64 s[8:9], vcc
	s_cbranch_execz .LBB5_8
; %bb.12:                               ;   in Loop: Header=BB5_10 Depth=1
	v_cvt_i32_f32_e32 v7, v8
	s_branch .LBB5_8
.LBB5_13:
	s_or_b64 exec, exec, s[0:1]
	s_ashr_i32 s75, s74, 31
	s_lshl_b64 s[76:77], s[74:75], 1
	s_add_u32 s89, s85, s76
	s_addc_u32 s81, s87, s77
	s_add_u32 s90, s72, s74
	s_addc_u32 s11, s73, s75
	s_sub_i32 s88, s86, s74
	s_ashr_i32 s0, s88, 31
	s_lshr_b32 s0, s0, 28
	s_add_i32 s0, s88, s0
	s_ashr_i32 s93, s0, 4
	v_cmp_gt_i32_e32 vcc, s93, v0
	s_and_saveexec_b64 s[78:79], vcc
	s_cbranch_execz .LBB5_85
; %bb.14:
	v_add_u32_e32 v1, 1, v0
	v_max_i32_e32 v2, s93, v1
	s_and_b32 s0, s33, 0xffff
	v_sub_u32_e32 v10, v2, v0
	s_cmp_eq_u32 s0, 1
	v_cmp_lt_u32_e32 vcc, 1, v10
	s_cselect_b64 s[0:1], -1, 0
	s_and_b64 s[2:3], vcc, s[0:1]
	s_mov_b64 s[0:1], -1
	v_mov_b32_e32 v9, v0
	s_and_saveexec_b64 s[4:5], s[2:3]
	s_cbranch_execz .LBB5_18
; %bb.15:
                                        ; implicit-def: $vgpr62 : SGPR spill to VGPR lane
	v_and_b32_e32 v11, -2, v10
	v_writelane_b32 v62, s4, 0
	v_mov_b32_e32 v4, v1
	v_writelane_b32 v62, s5, 1
	s_mov_b32 s94, s84
	s_mov_b64 s[82:83], 0
	v_mov_b32_e32 v2, 0
	v_mov_b32_e32 v9, s81
	s_mov_b32 s95, 0x4f000000
	s_mov_b32 s91, 0xcf000000
	v_mov_b32_e32 v12, 0xcf000000
	v_bfrev_b32_e32 v13, -2
	s_movk_i32 s92, 0xff80
	v_mov_b32_e32 v14, 0x7f
	v_mov_b32_e32 v16, s11
	s_mov_b32 s80, 0xc0c0004
	v_mov_b32_e32 v17, v11
	v_mov_b32_e32 v3, v0
	v_writelane_b32 v62, s11, 2
.LBB5_16:                               ; =>This Inner Loop Header: Depth=1
	v_mov_b32_e32 v1, v3
	v_add_u32_e32 v17, -2, v17
	v_lshlrev_b64 v[7:8], 5, v[1:2]
	v_mov_b32_e32 v5, v4
	v_mov_b32_e32 v6, v2
	v_cmp_eq_u32_e32 vcc, 0, v17
	v_lshlrev_b64 v[18:19], 5, v[5:6]
	s_or_b64 s[82:83], vcc, s[82:83]
	v_add_co_u32_e32 v26, vcc, s89, v7
	v_addc_co_u32_e32 v27, vcc, v9, v8, vcc
	v_lshlrev_b64 v[20:21], 4, v[1:2]
	v_add_co_u32_e32 v30, vcc, s89, v18
	v_addc_co_u32_e32 v31, vcc, v9, v19, vcc
	v_lshlrev_b64 v[22:23], 4, v[5:6]
	v_add_co_u32_e32 v5, vcc, s90, v20
	v_addc_co_u32_e32 v6, vcc, v16, v21, vcc
	v_add_co_u32_e32 v7, vcc, s90, v22
	v_addc_co_u32_e32 v8, vcc, v16, v23, vcc
	global_load_dwordx4 v[18:21], v[30:31], off
	global_load_dwordx4 v[22:25], v[26:27], off
	s_nop 0
	global_load_dwordx4 v[26:29], v[26:27], off offset:16
	s_nop 0
	global_load_dwordx4 v[30:33], v[30:31], off offset:16
	v_add_u32_e32 v4, 2, v4
	v_add_u32_e32 v3, 2, v3
	s_waitcnt vmcnt(3)
	v_lshlrev_b32_e32 v1, 16, v18
	s_waitcnt vmcnt(2)
	v_lshlrev_b32_e32 v37, 16, v22
	v_and_b32_e32 v22, 0xffff0000, v22
	v_lshlrev_b32_e32 v38, 16, v23
	v_mul_f32_e32 v22, v15, v22
	v_and_b32_e32 v18, 0xffff0000, v18
	v_and_b32_e32 v23, 0xffff0000, v23
	s_waitcnt vmcnt(1)
	v_lshlrev_b32_e32 v41, 16, v26
	v_mul_f32_e32 v38, v15, v38
	v_rndne_f32_e32 v22, v22
	v_lshlrev_b32_e32 v39, 16, v24
	v_mul_f32_e32 v23, v15, v23
	v_mul_f32_e32 v37, v15, v37
	;; [unrolled: 1-line block ×4, first 2 shown]
	v_rndne_f32_e32 v38, v38
	v_cmp_nge_f32_e32 vcc, s91, v22
	v_and_b32_e32 v24, 0xffff0000, v24
	v_mul_f32_e32 v39, v15, v39
	v_mul_f32_e32 v49, v15, v1
	v_rndne_f32_e32 v23, v23
	v_rndne_f32_e32 v1, v37
	;; [unrolled: 1-line block ×4, first 2 shown]
	v_cndmask_b32_e32 v41, v12, v22, vcc
	v_cmp_nge_f32_e32 vcc, s91, v38
	v_lshlrev_b32_e32 v40, 16, v25
	v_mul_f32_e32 v24, v15, v24
	v_rndne_f32_e32 v39, v39
	v_cndmask_b32_e32 v50, v12, v38, vcc
	v_cmp_nge_f32_e32 vcc, s91, v23
	v_and_b32_e32 v25, 0xffff0000, v25
	v_mul_f32_e32 v40, v15, v40
	v_rndne_f32_e32 v24, v24
	v_cndmask_b32_e32 v51, v12, v23, vcc
	v_cmp_nge_f32_e32 vcc, s91, v39
	v_mul_f32_e32 v25, v15, v25
	v_rndne_f32_e32 v40, v40
	v_cndmask_b32_e32 v52, v12, v39, vcc
	v_cmp_nge_f32_e32 vcc, s91, v24
	v_rndne_f32_e32 v25, v25
	v_cndmask_b32_e32 v53, v12, v24, vcc
	v_cmp_nge_f32_e32 vcc, s91, v40
	v_lshlrev_b32_e32 v34, 16, v19
	v_cndmask_b32_e32 v54, v12, v40, vcc
	v_cmp_nge_f32_e32 vcc, s91, v25
	v_and_b32_e32 v19, 0xffff0000, v19
	v_mul_f32_e32 v34, v15, v34
	v_cndmask_b32_e32 v55, v12, v25, vcc
	v_cmp_nge_f32_e32 vcc, s91, v1
	v_lshlrev_b32_e32 v35, 16, v20
	v_mul_f32_e32 v19, v15, v19
	v_rndne_f32_e32 v34, v34
	v_cndmask_b32_e32 v56, v12, v1, vcc
	v_cmp_nge_f32_e32 vcc, s91, v37
	v_and_b32_e32 v20, 0xffff0000, v20
	v_mul_f32_e32 v35, v15, v35
	v_rndne_f32_e32 v19, v19
	v_cndmask_b32_e32 v57, v12, v37, vcc
	v_cmp_nge_f32_e32 vcc, s91, v34
	v_lshlrev_b32_e32 v36, 16, v21
	v_mul_f32_e32 v20, v15, v20
	v_rndne_f32_e32 v35, v35
	v_cndmask_b32_e32 v58, v12, v34, vcc
	v_cmp_nge_f32_e32 vcc, s91, v19
	v_and_b32_e32 v21, 0xffff0000, v21
	v_mul_f32_e32 v36, v15, v36
	v_rndne_f32_e32 v20, v20
	v_cndmask_b32_e32 v59, v12, v19, vcc
	v_cmp_nge_f32_e32 vcc, s91, v35
	v_mul_f32_e32 v21, v15, v21
	v_rndne_f32_e32 v36, v36
	v_cndmask_b32_e32 v60, v12, v35, vcc
	v_cmp_nge_f32_e32 vcc, s91, v20
	s_waitcnt vmcnt(0)
	v_lshlrev_b32_e32 v45, 16, v30
	v_rndne_f32_e32 v21, v21
	v_cndmask_b32_e32 v61, v12, v20, vcc
	v_cmp_nge_f32_e32 vcc, s91, v36
	v_and_b32_e32 v26, 0xffff0000, v26
	v_mul_f32_e32 v45, v15, v45
	v_rndne_f32_e32 v49, v49
	v_cmp_nle_f32_e64 s[2:3], s95, v22
	v_cndmask_b32_e32 v22, v12, v36, vcc
	v_cmp_nge_f32_e32 vcc, s91, v21
	v_and_b32_e32 v30, 0xffff0000, v30
	v_mul_f32_e32 v26, v15, v26
	v_rndne_f32_e32 v45, v45
	v_cmp_nle_f32_e64 s[4:5], s95, v38
	v_cndmask_b32_e32 v38, v12, v21, vcc
	v_cmp_nge_f32_e32 vcc, s91, v49
	v_lshlrev_b32_e32 v42, 16, v27
	v_mul_f32_e32 v30, v15, v30
	v_rndne_f32_e32 v26, v26
	v_cmp_nle_f32_e64 s[6:7], s95, v23
	v_cndmask_b32_e32 v23, v12, v49, vcc
	v_cmp_nge_f32_e32 vcc, s91, v45
	v_lshlrev_b32_e32 v46, 16, v31
	v_mul_f32_e32 v42, v15, v42
	v_rndne_f32_e32 v30, v30
	v_cmp_nle_f32_e64 s[8:9], s95, v39
	v_cndmask_b32_e32 v39, v12, v45, vcc
	v_cmp_nge_f32_e32 vcc, s91, v26
	v_and_b32_e32 v27, 0xffff0000, v27
	v_mul_f32_e32 v46, v15, v46
	v_rndne_f32_e32 v42, v42
	v_cmp_nle_f32_e64 s[10:11], s95, v24
	v_cndmask_b32_e32 v24, v12, v26, vcc
	v_cmp_nge_f32_e32 vcc, s91, v30
	v_and_b32_e32 v31, 0xffff0000, v31
	v_mul_f32_e32 v27, v15, v27
	v_rndne_f32_e32 v46, v46
	v_cmp_nle_f32_e64 s[12:13], s95, v40
	v_cndmask_b32_e32 v40, v12, v30, vcc
	v_cmp_nge_f32_e32 vcc, s91, v42
	v_lshlrev_b32_e32 v43, 16, v28
	v_mul_f32_e32 v31, v15, v31
	v_rndne_f32_e32 v27, v27
	v_cmp_nle_f32_e64 s[14:15], s95, v25
	v_cndmask_b32_e32 v25, v12, v42, vcc
	v_cmp_nge_f32_e32 vcc, s91, v46
	v_lshlrev_b32_e32 v47, 16, v32
	v_mul_f32_e32 v43, v15, v43
	v_rndne_f32_e32 v31, v31
	v_cmp_nle_f32_e64 s[16:17], s95, v37
	;; [unrolled: 24-line block ×3, first 2 shown]
	v_cndmask_b32_e32 v20, v12, v47, vcc
	v_cmp_nge_f32_e32 vcc, s91, v28
	v_and_b32_e32 v33, 0xffff0000, v33
	v_mul_f32_e32 v44, v15, v44
	v_rndne_f32_e32 v48, v48
	v_cmp_nle_f32_e64 s[26:27], s95, v36
	v_cndmask_b32_e32 v36, v12, v28, vcc
	v_cmp_nge_f32_e32 vcc, s91, v32
	v_and_b32_e32 v29, 0xffff0000, v29
	v_mul_f32_e32 v33, v15, v33
	v_rndne_f32_e32 v44, v44
	v_cmp_nle_f32_e64 s[28:29], s95, v21
	v_cndmask_b32_e32 v21, v12, v32, vcc
	v_cmp_nge_f32_e32 vcc, s91, v48
	v_mul_f32_e32 v29, v15, v29
	v_rndne_f32_e32 v33, v33
	v_cmp_nle_f32_e64 s[30:31], s95, v49
	v_cndmask_b32_e32 v49, v12, v48, vcc
	v_cmp_nge_f32_e32 vcc, s91, v44
	v_rndne_f32_e32 v29, v29
	v_cmp_nle_f32_e64 s[34:35], s95, v45
	v_cndmask_b32_e32 v45, v12, v44, vcc
	v_cmp_nge_f32_e32 vcc, s91, v33
	v_cmp_nle_f32_e64 s[36:37], s95, v26
	v_cndmask_b32_e32 v26, v12, v33, vcc
	v_cmp_nge_f32_e32 vcc, s91, v29
	;; [unrolled: 3-line block ×3, first 2 shown]
	v_cvt_i32_f32_e32 v41, v41
	v_cvt_i32_f32_e32 v50, v50
	;; [unrolled: 1-line block ×3, first 2 shown]
	v_cmp_nle_f32_e64 s[40:41], s95, v42
	v_cndmask_b32_e32 v42, v12, v18, vcc
	v_cvt_i32_f32_e32 v56, v56
	v_cmp_nle_f32_e64 s[44:45], s95, v27
	v_cmp_nle_f32_e64 s[46:47], s95, v31
	v_cvt_i32_f32_e32 v27, v35
	v_cvt_i32_f32_e32 v20, v20
	;; [unrolled: 1-line block ×24, first 2 shown]
	v_cmp_nle_f32_e64 s[52:53], s95, v28
	v_cmp_nle_f32_e64 s[54:55], s95, v32
	v_cvt_i32_f32_e32 v28, v49
	v_cvt_i32_f32_e32 v32, v45
	;; [unrolled: 1-line block ×3, first 2 shown]
	v_cmp_nle_f32_e64 s[58:59], s95, v29
	v_cvt_i32_f32_e32 v29, v42
	v_cmp_nle_f32_e64 s[48:49], s95, v43
	v_cmp_nle_f32_e64 s[50:51], s95, v47
	;; [unrolled: 1-line block ×5, first 2 shown]
	v_cmp_nle_f32_e32 vcc, s95, v48
	v_cmp_nle_f32_e64 s[56:57], s95, v44
	v_cmp_nle_f32_e64 s[60:61], s95, v18
	v_cndmask_b32_e64 v1, v13, v56, s[62:63]
	v_cndmask_b32_e64 v18, v13, v41, s[2:3]
	;; [unrolled: 1-line block ×31, first 2 shown]
	v_cndmask_b32_e32 v28, v13, v28, vcc
	v_add_u32_e32 v1, s84, v1
	v_add_u32_e32 v18, s84, v18
	;; [unrolled: 1-line block ×32, first 2 shown]
	v_med3_i32 v1, v1, s92, v14
	v_med3_i32 v18, v18, s92, v14
	;; [unrolled: 1-line block ×32, first 2 shown]
	v_perm_b32 v1, v1, v18, s80
	v_perm_b32 v18, v33, v35, s80
	;; [unrolled: 1-line block ×4, first 2 shown]
	v_lshlrev_b16_e32 v20, 8, v26
	v_perm_b32 v33, v36, v41, s80
	v_perm_b32 v35, v42, v43, s80
	;; [unrolled: 1-line block ×11, first 2 shown]
	v_lshl_or_b32 v18, v18, 16, v1
	v_or_b32_sdwa v1, v28, v20 dst_sel:WORD_1 dst_unused:UNUSED_PAD src0_sel:BYTE_0 src1_sel:DWORD
	v_lshl_or_b32 v19, v35, 16, v33
	v_lshl_or_b32 v22, v36, 16, v23
	;; [unrolled: 1-line block ×6, first 2 shown]
	v_or_b32_e32 v25, v31, v1
	global_store_dwordx4 v[5:6], v[18:21], off
	global_store_dwordx4 v[7:8], v[22:25], off
	s_andn2_b64 exec, exec, s[82:83]
	s_cbranch_execnz .LBB5_16
; %bb.17:
	s_or_b64 exec, exec, s[82:83]
	v_cmp_ne_u32_e32 vcc, v10, v11
	v_readlane_b32 s4, v62, 0
	v_add_u32_e32 v9, v0, v11
	s_orn2_b64 s[0:1], vcc, exec
	v_readlane_b32 s11, v62, 2
	v_readlane_b32 s5, v62, 1
.LBB5_18:
	s_or_b64 exec, exec, s[4:5]
	s_and_b64 exec, exec, s[0:1]
	s_cbranch_execz .LBB5_85
; %bb.19:
	s_add_u32 s0, s74, s70
	s_addc_u32 s1, s75, s71
	v_mov_b32_e32 v10, 0
	v_lshlrev_b64 v[1:2], 4, v[9:10]
	s_add_u32 s0, s66, s0
	s_addc_u32 s1, s67, s1
	v_mov_b32_e32 v3, s1
	v_add_co_u32_e32 v1, vcc, s0, v1
	s_lshl_b32 s6, s33, 4
	v_addc_co_u32_e32 v2, vcc, v3, v2, vcc
	s_add_u32 s0, s64, s76
	v_add_co_u32_e32 v11, vcc, 7, v1
	s_addc_u32 s1, s65, s77
	v_addc_co_u32_e32 v12, vcc, 0, v2, vcc
	v_lshlrev_b64 v[1:2], 5, v[9:10]
	s_add_u32 s0, s0, s68
	s_addc_u32 s1, s1, s69
	v_mov_b32_e32 v3, s1
	v_add_co_u32_e32 v13, vcc, s0, v1
	v_addc_co_u32_e32 v14, vcc, v3, v2, vcc
	s_lshl_b32 s7, s33, 5
	s_mov_b64 s[0:1], 0
	s_mov_b32 s8, 0x4f000000
	s_mov_b32 s9, 0xcf000000
	s_movk_i32 s10, 0xff80
	v_mov_b32_e32 v10, 0x7f
	s_branch .LBB5_22
.LBB5_20:                               ;   in Loop: Header=BB5_22 Depth=1
	s_or_b64 exec, exec, s[4:5]
.LBB5_21:                               ;   in Loop: Header=BB5_22 Depth=1
	s_or_b64 exec, exec, s[2:3]
	v_add_u32_e32 v23, s84, v23
	v_add_u32_e32 v3, s84, v3
	;; [unrolled: 1-line block ×3, first 2 shown]
	v_med3_i32 v23, v23, s10, v10
	v_add_u32_e32 v2, s84, v2
	v_med3_i32 v3, v3, s10, v10
	v_med3_i32 v4, v4, s10, v10
	;; [unrolled: 1-line block ×3, first 2 shown]
	v_add_u32_e32 v22, s84, v22
	v_add_u32_e32 v21, s84, v21
	v_lshlrev_b16_e32 v23, 8, v23
	v_lshlrev_b16_e32 v3, 8, v3
	v_med3_i32 v22, v22, s10, v10
	v_add_u32_e32 v1, s84, v1
	v_med3_i32 v21, v21, s10, v10
	v_add_u32_e32 v8, s84, v8
	v_or_b32_sdwa v2, v2, v23 dst_sel:DWORD dst_unused:UNUSED_PAD src0_sel:BYTE_0 src1_sel:DWORD
	v_or_b32_sdwa v3, v4, v3 dst_sel:WORD_1 dst_unused:UNUSED_PAD src0_sel:BYTE_0 src1_sel:DWORD
	v_med3_i32 v1, v1, s10, v10
	v_med3_i32 v8, v8, s10, v10
	v_add_u32_e32 v20, s84, v20
	v_add_u32_e32 v19, s84, v19
	v_or_b32_sdwa v4, v2, v3 dst_sel:DWORD dst_unused:UNUSED_PAD src0_sel:WORD_0 src1_sel:DWORD
	v_lshlrev_b16_e32 v2, 8, v21
	v_lshlrev_b16_e32 v3, 8, v22
	v_med3_i32 v20, v20, s10, v10
	v_add_u32_e32 v7, s84, v7
	v_med3_i32 v19, v19, s10, v10
	v_add_u32_e32 v6, s84, v6
	v_or_b32_sdwa v2, v8, v2 dst_sel:DWORD dst_unused:UNUSED_PAD src0_sel:BYTE_0 src1_sel:DWORD
	v_or_b32_sdwa v1, v1, v3 dst_sel:WORD_1 dst_unused:UNUSED_PAD src0_sel:BYTE_0 src1_sel:DWORD
	v_med3_i32 v7, v7, s10, v10
	v_med3_i32 v6, v6, s10, v10
	v_add_u32_e32 v18, s84, v18
	v_add_u32_e32 v16, s84, v16
	v_or_b32_sdwa v3, v2, v1 dst_sel:DWORD dst_unused:UNUSED_PAD src0_sel:WORD_0 src1_sel:DWORD
	v_lshlrev_b16_e32 v1, 8, v19
	v_lshlrev_b16_e32 v2, 8, v20
	v_med3_i32 v18, v18, s10, v10
	v_add_u32_e32 v5, s84, v5
	v_med3_i32 v16, v16, s10, v10
	v_add_u32_e32 v17, s84, v17
	v_or_b32_sdwa v1, v6, v1 dst_sel:DWORD dst_unused:UNUSED_PAD src0_sel:BYTE_0 src1_sel:DWORD
	v_or_b32_sdwa v2, v7, v2 dst_sel:WORD_1 dst_unused:UNUSED_PAD src0_sel:BYTE_0 src1_sel:DWORD
	v_med3_i32 v5, v5, s10, v10
	v_med3_i32 v17, v17, s10, v10
	v_or_b32_sdwa v2, v1, v2 dst_sel:DWORD dst_unused:UNUSED_PAD src0_sel:WORD_0 src1_sel:DWORD
	v_lshlrev_b16_e32 v1, 8, v16
	v_lshlrev_b16_e32 v6, 8, v18
	v_or_b32_sdwa v1, v17, v1 dst_sel:DWORD dst_unused:UNUSED_PAD src0_sel:BYTE_0 src1_sel:DWORD
	v_or_b32_sdwa v5, v5, v6 dst_sel:WORD_1 dst_unused:UNUSED_PAD src0_sel:BYTE_0 src1_sel:DWORD
	v_or_b32_sdwa v1, v1, v5 dst_sel:DWORD dst_unused:UNUSED_PAD src0_sel:WORD_0 src1_sel:DWORD
	global_store_dwordx4 v[11:12], v[1:4], off offset:-7
	v_add_co_u32_e32 v11, vcc, s6, v11
	v_add_u32_e32 v9, s33, v9
	v_addc_co_u32_e32 v12, vcc, 0, v12, vcc
	v_cmp_le_i32_e32 vcc, s93, v9
	s_or_b64 s[0:1], vcc, s[0:1]
	v_add_co_u32_e32 v13, vcc, s7, v13
	v_addc_co_u32_e32 v14, vcc, 0, v14, vcc
	s_andn2_b64 exec, exec, s[0:1]
	s_cbranch_execz .LBB5_85
.LBB5_22:                               ; =>This Inner Loop Header: Depth=1
	global_load_dwordx4 v[5:8], v[13:14], off
	global_load_dwordx4 v[1:4], v[13:14], off offset:16
	v_bfrev_b32_e32 v16, -2
	s_waitcnt vmcnt(1)
	v_lshlrev_b32_e32 v17, 16, v5
	v_mul_f32_e32 v17, v15, v17
	v_rndne_f32_e32 v18, v17
	v_cmp_nle_f32_e32 vcc, s8, v18
	v_bfrev_b32_e32 v17, -2
	s_and_saveexec_b64 s[2:3], vcc
	s_cbranch_execz .LBB5_26
; %bb.23:                               ;   in Loop: Header=BB5_22 Depth=1
	v_cmp_nge_f32_e32 vcc, s9, v18
	v_bfrev_b32_e32 v17, 1
	s_and_saveexec_b64 s[4:5], vcc
; %bb.24:                               ;   in Loop: Header=BB5_22 Depth=1
	v_cvt_i32_f32_e32 v17, v18
; %bb.25:                               ;   in Loop: Header=BB5_22 Depth=1
	s_or_b64 exec, exec, s[4:5]
.LBB5_26:                               ;   in Loop: Header=BB5_22 Depth=1
	s_or_b64 exec, exec, s[2:3]
	v_and_b32_e32 v5, 0xffff0000, v5
	v_mul_f32_e32 v5, v15, v5
	v_rndne_f32_e32 v5, v5
	v_cmp_nle_f32_e32 vcc, s8, v5
	s_and_saveexec_b64 s[2:3], vcc
	s_cbranch_execz .LBB5_30
; %bb.27:                               ;   in Loop: Header=BB5_22 Depth=1
	v_cmp_nge_f32_e32 vcc, s9, v5
	v_bfrev_b32_e32 v16, 1
	s_and_saveexec_b64 s[4:5], vcc
; %bb.28:                               ;   in Loop: Header=BB5_22 Depth=1
	v_cvt_i32_f32_e32 v16, v5
; %bb.29:                               ;   in Loop: Header=BB5_22 Depth=1
	s_or_b64 exec, exec, s[4:5]
.LBB5_30:                               ;   in Loop: Header=BB5_22 Depth=1
	s_or_b64 exec, exec, s[2:3]
	v_lshlrev_b32_e32 v5, 16, v6
	v_mul_f32_e32 v5, v15, v5
	v_rndne_f32_e32 v19, v5
	v_cmp_nle_f32_e32 vcc, s8, v19
	v_bfrev_b32_e32 v18, -2
	v_bfrev_b32_e32 v5, -2
	s_and_saveexec_b64 s[2:3], vcc
	s_cbranch_execz .LBB5_34
; %bb.31:                               ;   in Loop: Header=BB5_22 Depth=1
	v_cmp_nge_f32_e32 vcc, s9, v19
	v_bfrev_b32_e32 v5, 1
	s_and_saveexec_b64 s[4:5], vcc
; %bb.32:                               ;   in Loop: Header=BB5_22 Depth=1
	v_cvt_i32_f32_e32 v5, v19
; %bb.33:                               ;   in Loop: Header=BB5_22 Depth=1
	s_or_b64 exec, exec, s[4:5]
.LBB5_34:                               ;   in Loop: Header=BB5_22 Depth=1
	s_or_b64 exec, exec, s[2:3]
	v_and_b32_e32 v6, 0xffff0000, v6
	v_mul_f32_e32 v6, v15, v6
	v_rndne_f32_e32 v6, v6
	v_cmp_nle_f32_e32 vcc, s8, v6
	s_and_saveexec_b64 s[2:3], vcc
	s_cbranch_execz .LBB5_38
; %bb.35:                               ;   in Loop: Header=BB5_22 Depth=1
	v_cmp_nge_f32_e32 vcc, s9, v6
	v_bfrev_b32_e32 v18, 1
	s_and_saveexec_b64 s[4:5], vcc
; %bb.36:                               ;   in Loop: Header=BB5_22 Depth=1
	v_cvt_i32_f32_e32 v18, v6
; %bb.37:                               ;   in Loop: Header=BB5_22 Depth=1
	s_or_b64 exec, exec, s[4:5]
.LBB5_38:                               ;   in Loop: Header=BB5_22 Depth=1
	s_or_b64 exec, exec, s[2:3]
	v_lshlrev_b32_e32 v6, 16, v7
	v_mul_f32_e32 v6, v15, v6
	v_rndne_f32_e32 v20, v6
	v_cmp_nle_f32_e32 vcc, s8, v20
	v_bfrev_b32_e32 v19, -2
	;; [unrolled: 34-line block ×3, first 2 shown]
	v_bfrev_b32_e32 v7, -2
	s_and_saveexec_b64 s[2:3], vcc
	s_cbranch_execz .LBB5_50
; %bb.47:                               ;   in Loop: Header=BB5_22 Depth=1
	v_cmp_nge_f32_e32 vcc, s9, v21
	v_bfrev_b32_e32 v7, 1
	s_and_saveexec_b64 s[4:5], vcc
; %bb.48:                               ;   in Loop: Header=BB5_22 Depth=1
	v_cvt_i32_f32_e32 v7, v21
; %bb.49:                               ;   in Loop: Header=BB5_22 Depth=1
	s_or_b64 exec, exec, s[4:5]
.LBB5_50:                               ;   in Loop: Header=BB5_22 Depth=1
	s_or_b64 exec, exec, s[2:3]
	v_and_b32_e32 v8, 0xffff0000, v8
	v_mul_f32_e32 v8, v15, v8
	v_rndne_f32_e32 v8, v8
	v_cmp_nle_f32_e32 vcc, s8, v8
	s_and_saveexec_b64 s[2:3], vcc
	s_cbranch_execz .LBB5_54
; %bb.51:                               ;   in Loop: Header=BB5_22 Depth=1
	v_cmp_nge_f32_e32 vcc, s9, v8
	v_bfrev_b32_e32 v20, 1
	s_and_saveexec_b64 s[4:5], vcc
; %bb.52:                               ;   in Loop: Header=BB5_22 Depth=1
	v_cvt_i32_f32_e32 v20, v8
; %bb.53:                               ;   in Loop: Header=BB5_22 Depth=1
	s_or_b64 exec, exec, s[4:5]
.LBB5_54:                               ;   in Loop: Header=BB5_22 Depth=1
	s_or_b64 exec, exec, s[2:3]
	s_waitcnt vmcnt(0)
	v_lshlrev_b32_e32 v8, 16, v1
	v_mul_f32_e32 v8, v15, v8
	v_rndne_f32_e32 v22, v8
	v_cmp_nle_f32_e32 vcc, s8, v22
	v_bfrev_b32_e32 v21, -2
	v_bfrev_b32_e32 v8, -2
	s_and_saveexec_b64 s[2:3], vcc
	s_cbranch_execz .LBB5_58
; %bb.55:                               ;   in Loop: Header=BB5_22 Depth=1
	v_cmp_nge_f32_e32 vcc, s9, v22
	v_bfrev_b32_e32 v8, 1
	s_and_saveexec_b64 s[4:5], vcc
; %bb.56:                               ;   in Loop: Header=BB5_22 Depth=1
	v_cvt_i32_f32_e32 v8, v22
; %bb.57:                               ;   in Loop: Header=BB5_22 Depth=1
	s_or_b64 exec, exec, s[4:5]
.LBB5_58:                               ;   in Loop: Header=BB5_22 Depth=1
	s_or_b64 exec, exec, s[2:3]
	v_and_b32_e32 v1, 0xffff0000, v1
	v_mul_f32_e32 v1, v15, v1
	v_rndne_f32_e32 v1, v1
	v_cmp_nle_f32_e32 vcc, s8, v1
	s_and_saveexec_b64 s[2:3], vcc
	s_cbranch_execz .LBB5_62
; %bb.59:                               ;   in Loop: Header=BB5_22 Depth=1
	v_cmp_nge_f32_e32 vcc, s9, v1
	v_bfrev_b32_e32 v21, 1
	s_and_saveexec_b64 s[4:5], vcc
; %bb.60:                               ;   in Loop: Header=BB5_22 Depth=1
	v_cvt_i32_f32_e32 v21, v1
; %bb.61:                               ;   in Loop: Header=BB5_22 Depth=1
	s_or_b64 exec, exec, s[4:5]
.LBB5_62:                               ;   in Loop: Header=BB5_22 Depth=1
	s_or_b64 exec, exec, s[2:3]
	v_lshlrev_b32_e32 v1, 16, v2
	v_mul_f32_e32 v1, v15, v1
	v_rndne_f32_e32 v23, v1
	v_cmp_nle_f32_e32 vcc, s8, v23
	v_bfrev_b32_e32 v22, -2
	v_bfrev_b32_e32 v1, -2
	s_and_saveexec_b64 s[2:3], vcc
	s_cbranch_execz .LBB5_66
; %bb.63:                               ;   in Loop: Header=BB5_22 Depth=1
	v_cmp_nge_f32_e32 vcc, s9, v23
	v_bfrev_b32_e32 v1, 1
	s_and_saveexec_b64 s[4:5], vcc
; %bb.64:                               ;   in Loop: Header=BB5_22 Depth=1
	v_cvt_i32_f32_e32 v1, v23
; %bb.65:                               ;   in Loop: Header=BB5_22 Depth=1
	s_or_b64 exec, exec, s[4:5]
.LBB5_66:                               ;   in Loop: Header=BB5_22 Depth=1
	s_or_b64 exec, exec, s[2:3]
	v_and_b32_e32 v2, 0xffff0000, v2
	v_mul_f32_e32 v2, v15, v2
	v_rndne_f32_e32 v2, v2
	v_cmp_nle_f32_e32 vcc, s8, v2
	s_and_saveexec_b64 s[2:3], vcc
	s_cbranch_execz .LBB5_70
; %bb.67:                               ;   in Loop: Header=BB5_22 Depth=1
	v_cmp_nge_f32_e32 vcc, s9, v2
	v_bfrev_b32_e32 v22, 1
	s_and_saveexec_b64 s[4:5], vcc
; %bb.68:                               ;   in Loop: Header=BB5_22 Depth=1
	v_cvt_i32_f32_e32 v22, v2
; %bb.69:                               ;   in Loop: Header=BB5_22 Depth=1
	s_or_b64 exec, exec, s[4:5]
.LBB5_70:                               ;   in Loop: Header=BB5_22 Depth=1
	s_or_b64 exec, exec, s[2:3]
	;; [unrolled: 34-line block ×3, first 2 shown]
	v_lshlrev_b32_e32 v3, 16, v4
	v_mul_f32_e32 v3, v15, v3
	v_rndne_f32_e32 v25, v3
	v_cmp_nle_f32_e32 vcc, s8, v25
	v_bfrev_b32_e32 v3, -2
	v_bfrev_b32_e32 v24, -2
	s_and_saveexec_b64 s[2:3], vcc
	s_cbranch_execz .LBB5_82
; %bb.79:                               ;   in Loop: Header=BB5_22 Depth=1
	v_cmp_nge_f32_e32 vcc, s9, v25
	v_bfrev_b32_e32 v24, 1
	s_and_saveexec_b64 s[4:5], vcc
; %bb.80:                               ;   in Loop: Header=BB5_22 Depth=1
	v_cvt_i32_f32_e32 v24, v25
; %bb.81:                               ;   in Loop: Header=BB5_22 Depth=1
	s_or_b64 exec, exec, s[4:5]
.LBB5_82:                               ;   in Loop: Header=BB5_22 Depth=1
	s_or_b64 exec, exec, s[2:3]
	v_and_b32_e32 v4, 0xffff0000, v4
	v_mul_f32_e32 v4, v15, v4
	v_rndne_f32_e32 v4, v4
	v_cmp_nle_f32_e32 vcc, s8, v4
	s_and_saveexec_b64 s[2:3], vcc
	s_cbranch_execz .LBB5_21
; %bb.83:                               ;   in Loop: Header=BB5_22 Depth=1
	v_cmp_nge_f32_e32 vcc, s9, v4
	v_bfrev_b32_e32 v3, 1
	s_and_saveexec_b64 s[4:5], vcc
	s_cbranch_execz .LBB5_20
; %bb.84:                               ;   in Loop: Header=BB5_22 Depth=1
	v_cvt_i32_f32_e32 v3, v4
	s_branch .LBB5_20
.LBB5_85:
	s_or_b64 exec, exec, s[78:79]
	v_lshl_add_u32 v1, s93, 4, v0
	v_cmp_gt_i32_e32 vcc, s88, v1
	s_and_saveexec_b64 s[0:1], vcc
	s_cbranch_execz .LBB5_97
; %bb.86:
	v_add_u32_e32 v2, 1, v1
	v_max_i32_e32 v2, s88, v2
	s_and_b32 s2, s33, 0xffff
	v_sub_u32_e32 v4, v2, v1
	s_cmp_eq_u32 s2, 1
	v_cmp_lt_u32_e32 vcc, 1, v4
	s_cselect_b64 s[2:3], -1, 0
	s_and_b64 s[6:7], vcc, s[2:3]
	s_mov_b64 s[4:5], -1
	s_and_saveexec_b64 s[2:3], s[6:7]
	s_cbranch_execz .LBB5_90
; %bb.87:
	v_and_b32_e32 v5, -2, v4
	s_mov_b32 s6, s84
	s_mov_b64 s[4:5], 0
	v_mov_b32_e32 v6, s11
	v_mov_b32_e32 v7, s81
	s_mov_b32 s7, 0x4f000000
	s_mov_b32 s8, 0xcf000000
	v_mov_b32_e32 v8, 0xcf000000
	v_bfrev_b32_e32 v9, -2
	s_movk_i32 s9, 0xff80
	v_mov_b32_e32 v10, 0x7f
	v_mov_b32_e32 v2, v1
	;; [unrolled: 1-line block ×3, first 2 shown]
.LBB5_88:                               ; =>This Inner Loop Header: Depth=1
	v_ashrrev_i32_e32 v3, 31, v2
	v_lshlrev_b64 v[12:13], 1, v[2:3]
	v_add_u32_e32 v11, -2, v11
	v_add_co_u32_e32 v12, vcc, s89, v12
	v_addc_co_u32_e32 v13, vcc, v7, v13, vcc
	global_load_dword v14, v[12:13], off
	v_add_co_u32_e32 v12, vcc, s90, v2
	v_addc_co_u32_e32 v13, vcc, v6, v3, vcc
	v_cmp_eq_u32_e32 vcc, 0, v11
	s_or_b64 s[4:5], vcc, s[4:5]
	v_add_u32_e32 v2, 2, v2
	s_waitcnt vmcnt(0)
	v_lshlrev_b32_e32 v3, 16, v14
	v_and_b32_e32 v14, 0xffff0000, v14
	v_mul_f32_e32 v3, v15, v3
	v_mul_f32_e32 v14, v15, v14
	v_rndne_f32_e32 v3, v3
	v_rndne_f32_e32 v14, v14
	v_cmp_nge_f32_e32 vcc, s8, v3
	v_cndmask_b32_e32 v16, v8, v3, vcc
	v_cmp_nge_f32_e32 vcc, s8, v14
	v_cvt_i32_f32_e32 v16, v16
	v_cndmask_b32_e32 v17, v8, v14, vcc
	v_cvt_i32_f32_e32 v17, v17
	v_cmp_nle_f32_e32 vcc, s7, v3
	v_cndmask_b32_e32 v3, v9, v16, vcc
	v_cmp_nle_f32_e32 vcc, s7, v14
	v_cndmask_b32_e32 v14, v9, v17, vcc
	v_add_u32_e32 v14, s6, v14
	v_add_u32_e32 v3, s84, v3
	v_med3_i32 v14, v14, s9, v10
	v_med3_i32 v3, v3, s9, v10
	v_lshlrev_b16_e32 v14, 8, v14
	v_or_b32_sdwa v3, v3, v14 dst_sel:DWORD dst_unused:UNUSED_PAD src0_sel:BYTE_0 src1_sel:DWORD
	global_store_short v[12:13], v3, off
	s_andn2_b64 exec, exec, s[4:5]
	s_cbranch_execnz .LBB5_88
; %bb.89:
	s_or_b64 exec, exec, s[4:5]
	v_cmp_ne_u32_e32 vcc, v4, v5
	v_add_u32_e32 v1, v1, v5
	s_orn2_b64 s[4:5], vcc, exec
.LBB5_90:
	s_or_b64 exec, exec, s[2:3]
	s_and_b64 exec, exec, s[4:5]
	s_cbranch_execz .LBB5_97
; %bb.91:
	s_add_u32 s2, s68, s76
	s_addc_u32 s3, s69, s77
	v_ashrrev_i32_e32 v2, 31, v1
	v_lshlrev_b64 v[3:4], 1, v[1:2]
	s_add_u32 s2, s64, s2
	s_addc_u32 s3, s65, s3
	s_lshl_b32 s10, s33, 1
	v_add_co_u32_e32 v3, vcc, s2, v3
	s_add_u32 s2, s74, s70
	v_mov_b32_e32 v5, s3
	s_addc_u32 s3, s75, s71
	s_add_u32 s2, s66, s2
	v_addc_co_u32_e32 v4, vcc, v5, v4, vcc
	s_addc_u32 s3, s67, s3
	v_mov_b32_e32 v6, s3
	v_add_co_u32_e32 v5, vcc, s2, v1
	v_addc_co_u32_e32 v2, vcc, v6, v2, vcc
	s_mov_b64 s[2:3], 0
	s_mov_b32 s11, 0x4f000000
	s_mov_b32 s12, 0xcf000000
	s_movk_i32 s13, 0xff80
	v_mov_b32_e32 v6, 0x7f
	s_mov_b64 s[4:5], 0
	s_branch .LBB5_94
.LBB5_92:                               ;   in Loop: Header=BB5_94 Depth=1
	s_or_b64 exec, exec, s[8:9]
.LBB5_93:                               ;   in Loop: Header=BB5_94 Depth=1
	s_or_b64 exec, exec, s[6:7]
	v_mov_b32_e32 v9, s5
	v_add_co_u32_e32 v8, vcc, s4, v5
	v_add_u32_e32 v7, s84, v7
	v_addc_co_u32_e32 v9, vcc, v2, v9, vcc
	v_med3_i32 v7, v7, s13, v6
	s_add_u32 s4, s4, s33
	global_store_byte v[8:9], v7, off
	v_add_u32_e32 v7, s4, v1
	s_addc_u32 s5, s5, 0
	v_cmp_le_i32_e32 vcc, s88, v7
	s_or_b64 s[2:3], vcc, s[2:3]
	v_add_co_u32_e32 v3, vcc, s10, v3
	v_addc_co_u32_e32 v4, vcc, 0, v4, vcc
	s_andn2_b64 exec, exec, s[2:3]
	s_cbranch_execz .LBB5_97
.LBB5_94:                               ; =>This Inner Loop Header: Depth=1
	global_load_ushort v7, v[3:4], off
	s_waitcnt vmcnt(0)
	v_lshlrev_b32_e32 v7, 16, v7
	v_mul_f32_e32 v7, v15, v7
	v_rndne_f32_e32 v8, v7
	v_cmp_nle_f32_e32 vcc, s11, v8
	v_bfrev_b32_e32 v7, -2
	s_and_saveexec_b64 s[6:7], vcc
	s_cbranch_execz .LBB5_93
; %bb.95:                               ;   in Loop: Header=BB5_94 Depth=1
	v_cmp_nge_f32_e32 vcc, s12, v8
	v_bfrev_b32_e32 v7, 1
	s_and_saveexec_b64 s[8:9], vcc
	s_cbranch_execz .LBB5_92
; %bb.96:                               ;   in Loop: Header=BB5_94 Depth=1
	v_cvt_i32_f32_e32 v7, v8
	s_branch .LBB5_92
.LBB5_97:
	s_or_b64 exec, exec, s[0:1]
	s_mov_b64 s[0:1], 0
.LBB5_98:
	s_and_b64 vcc, exec, s[0:1]
	s_cbranch_vccz .LBB5_171
; %bb.99:
	s_ashr_i32 s78, s86, 4
	v_cmp_gt_i32_e32 vcc, s78, v0
	s_and_saveexec_b64 s[0:1], vcc
	s_cbranch_execz .LBB5_171
; %bb.100:
	v_add_u32_e32 v1, 1, v0
	v_max_i32_e32 v2, s78, v1
	s_and_b32 s0, s33, 0xffff
	v_sub_u32_e32 v9, v2, v0
	s_cmp_eq_u32 s0, 1
	v_cmp_lt_u32_e32 vcc, 1, v9
	s_cselect_b64 s[0:1], -1, 0
	s_and_b64 s[2:3], vcc, s[0:1]
	s_mov_b64 s[0:1], -1
	s_and_saveexec_b64 s[74:75], s[2:3]
	s_cbranch_execz .LBB5_104
; %bb.101:
	v_and_b32_e32 v10, -2, v9
	v_mov_b32_e32 v4, v1
	s_mov_b32 s79, s84
	s_mov_b64 s[76:77], 0
	v_mov_b32_e32 v2, 0
	v_mov_b32_e32 v11, s87
	s_mov_b32 s80, 0x4f000000
	s_mov_b32 s81, 0xcf000000
	v_mov_b32_e32 v12, 0xcf000000
	v_bfrev_b32_e32 v13, -2
	s_movk_i32 s82, 0xff80
	v_mov_b32_e32 v14, 0x7f
	v_mov_b32_e32 v16, s73
	s_mov_b32 s73, 0xc0c0004
	v_mov_b32_e32 v17, v10
	v_mov_b32_e32 v3, v0
.LBB5_102:                              ; =>This Inner Loop Header: Depth=1
	v_mov_b32_e32 v1, v3
	v_add_u32_e32 v17, -2, v17
	v_lshlrev_b64 v[7:8], 5, v[1:2]
	v_cmp_eq_u32_e32 vcc, 0, v17
	v_lshlrev_b64 v[18:19], 4, v[1:2]
	s_or_b64 s[76:77], vcc, s[76:77]
	v_add_co_u32_e32 v26, vcc, s85, v7
	v_mov_b32_e32 v5, v4
	v_mov_b32_e32 v6, v2
	v_addc_co_u32_e32 v27, vcc, v11, v8, vcc
	v_lshlrev_b64 v[20:21], 5, v[5:6]
	v_lshlrev_b64 v[22:23], 4, v[5:6]
	v_add_co_u32_e32 v5, vcc, s72, v18
	v_addc_co_u32_e32 v6, vcc, v16, v19, vcc
	v_add_co_u32_e32 v30, vcc, s85, v20
	v_addc_co_u32_e32 v31, vcc, v11, v21, vcc
	v_add_co_u32_e32 v7, vcc, s72, v22
	v_addc_co_u32_e32 v8, vcc, v16, v23, vcc
	global_load_dwordx4 v[18:21], v[26:27], off
	global_load_dwordx4 v[22:25], v[26:27], off offset:16
                                        ; kill: killed $vgpr26 killed $vgpr27
	s_nop 0
	global_load_dwordx4 v[26:29], v[30:31], off
	s_nop 0
	global_load_dwordx4 v[30:33], v[30:31], off offset:16
	v_add_u32_e32 v4, 2, v4
	v_add_u32_e32 v3, 2, v3
	s_waitcnt vmcnt(3)
	v_lshlrev_b32_e32 v1, 16, v18
	v_and_b32_e32 v18, 0xffff0000, v18
	v_lshlrev_b32_e32 v34, 16, v19
	v_mul_f32_e32 v18, v15, v18
	v_and_b32_e32 v19, 0xffff0000, v19
	s_waitcnt vmcnt(0)
	v_lshlrev_b32_e32 v47, 16, v32
	v_mul_f32_e32 v34, v15, v34
	v_rndne_f32_e32 v49, v18
	v_lshlrev_b32_e32 v35, 16, v20
	v_mul_f32_e32 v19, v15, v19
	v_mul_f32_e32 v47, v15, v47
	v_rndne_f32_e32 v34, v34
	v_cmp_nge_f32_e32 vcc, s81, v49
	v_and_b32_e32 v20, 0xffff0000, v20
	v_mul_f32_e32 v35, v15, v35
	v_rndne_f32_e32 v19, v19
	v_rndne_f32_e32 v18, v47
	v_cndmask_b32_e32 v47, v12, v49, vcc
	v_cmp_nge_f32_e32 vcc, s81, v34
	v_lshlrev_b32_e32 v36, 16, v21
	v_mul_f32_e32 v20, v15, v20
	v_rndne_f32_e32 v35, v35
	v_cndmask_b32_e32 v50, v12, v34, vcc
	v_cmp_nge_f32_e32 vcc, s81, v19
	v_and_b32_e32 v21, 0xffff0000, v21
	v_mul_f32_e32 v36, v15, v36
	v_rndne_f32_e32 v20, v20
	v_cndmask_b32_e32 v51, v12, v19, vcc
	v_cmp_nge_f32_e32 vcc, s81, v35
	v_mul_f32_e32 v21, v15, v21
	v_rndne_f32_e32 v36, v36
	v_cndmask_b32_e32 v52, v12, v35, vcc
	v_cmp_nge_f32_e32 vcc, s81, v20
	v_lshlrev_b32_e32 v37, 16, v22
	v_and_b32_e32 v22, 0xffff0000, v22
	v_mul_f32_e32 v1, v15, v1
	v_rndne_f32_e32 v21, v21
	v_cndmask_b32_e32 v53, v12, v20, vcc
	v_cmp_nge_f32_e32 vcc, s81, v36
	v_lshlrev_b32_e32 v38, 16, v23
	v_mul_f32_e32 v22, v15, v22
	v_rndne_f32_e32 v1, v1
	v_cndmask_b32_e32 v54, v12, v36, vcc
	v_cmp_nge_f32_e32 vcc, s81, v21
	v_and_b32_e32 v23, 0xffff0000, v23
	v_mul_f32_e32 v38, v15, v38
	v_rndne_f32_e32 v22, v22
	v_cndmask_b32_e32 v55, v12, v21, vcc
	v_cmp_nge_f32_e32 vcc, s81, v1
	v_mul_f32_e32 v23, v15, v23
	v_rndne_f32_e32 v38, v38
	v_cndmask_b32_e32 v56, v12, v1, vcc
	v_cmp_nge_f32_e32 vcc, s81, v22
	v_lshlrev_b32_e32 v39, 16, v24
	v_and_b32_e32 v24, 0xffff0000, v24
	v_lshlrev_b32_e32 v40, 16, v25
	v_and_b32_e32 v25, 0xffff0000, v25
	v_mul_f32_e32 v37, v15, v37
	v_rndne_f32_e32 v23, v23
	v_cndmask_b32_e32 v57, v12, v22, vcc
	v_cmp_nge_f32_e32 vcc, s81, v38
	v_mul_f32_e32 v24, v15, v24
	v_mul_f32_e32 v40, v15, v40
	;; [unrolled: 1-line block ×3, first 2 shown]
	v_rndne_f32_e32 v37, v37
	v_cndmask_b32_e32 v58, v12, v38, vcc
	v_cmp_nge_f32_e32 vcc, s81, v23
	v_lshlrev_b32_e32 v41, 16, v26
	v_and_b32_e32 v26, 0xffff0000, v26
	v_mul_f32_e32 v39, v15, v39
	v_rndne_f32_e32 v24, v24
	v_rndne_f32_e32 v40, v40
	;; [unrolled: 1-line block ×3, first 2 shown]
	v_cndmask_b32_e32 v59, v12, v23, vcc
	v_cmp_nge_f32_e32 vcc, s81, v37
	v_lshlrev_b32_e32 v42, 16, v27
	v_mul_f32_e32 v26, v15, v26
	v_rndne_f32_e32 v39, v39
	v_cndmask_b32_e32 v60, v12, v37, vcc
	v_cmp_nge_f32_e32 vcc, s81, v24
	v_cmp_nge_f32_e64 s[0:1], s81, v40
	v_cmp_nge_f32_e64 s[2:3], s81, v25
	v_and_b32_e32 v27, 0xffff0000, v27
	v_mul_f32_e32 v42, v15, v42
	v_rndne_f32_e32 v26, v26
	v_cndmask_b32_e32 v61, v12, v24, vcc
	v_cmp_nle_f32_e32 vcc, s80, v49
	v_cndmask_b32_e64 v49, v12, v40, s[0:1]
	v_cmp_nle_f32_e64 s[0:1], s80, v34
	v_cndmask_b32_e64 v34, v12, v25, s[2:3]
	v_cmp_nge_f32_e64 s[2:3], s81, v39
	v_lshlrev_b32_e32 v43, 16, v28
	v_mul_f32_e32 v27, v15, v27
	v_rndne_f32_e32 v42, v42
	v_cmp_nle_f32_e64 s[4:5], s80, v19
	v_cndmask_b32_e64 v19, v12, v39, s[2:3]
	v_cmp_nge_f32_e64 s[2:3], s81, v26
	v_and_b32_e32 v28, 0xffff0000, v28
	v_mul_f32_e32 v43, v15, v43
	v_rndne_f32_e32 v27, v27
	v_cmp_nle_f32_e64 s[6:7], s80, v35
	v_cndmask_b32_e64 v35, v12, v26, s[2:3]
	v_cmp_nge_f32_e64 s[2:3], s81, v42
	v_lshlrev_b32_e32 v44, 16, v29
	v_mul_f32_e32 v28, v15, v28
	v_rndne_f32_e32 v43, v43
	v_cmp_nle_f32_e64 s[8:9], s80, v20
	v_cndmask_b32_e64 v20, v12, v42, s[2:3]
	v_cmp_nge_f32_e64 s[2:3], s81, v27
	v_and_b32_e32 v29, 0xffff0000, v29
	v_mul_f32_e32 v44, v15, v44
	v_rndne_f32_e32 v28, v28
	v_cmp_nle_f32_e64 s[10:11], s80, v36
	v_cndmask_b32_e64 v36, v12, v27, s[2:3]
	v_cmp_nge_f32_e64 s[2:3], s81, v43
	v_mul_f32_e32 v29, v15, v29
	v_rndne_f32_e32 v44, v44
	v_cmp_nle_f32_e64 s[12:13], s80, v21
	v_cndmask_b32_e64 v21, v12, v43, s[2:3]
	v_cmp_nge_f32_e64 s[2:3], s81, v28
	v_lshlrev_b32_e32 v45, 16, v30
	v_and_b32_e32 v30, 0xffff0000, v30
	v_mul_f32_e32 v41, v15, v41
	v_rndne_f32_e32 v29, v29
	v_cmp_nle_f32_e64 s[14:15], s80, v22
	v_cndmask_b32_e64 v22, v12, v28, s[2:3]
	v_cmp_nge_f32_e64 s[2:3], s81, v44
	v_lshlrev_b32_e32 v46, 16, v31
	v_mul_f32_e32 v30, v15, v30
	v_rndne_f32_e32 v41, v41
	v_cmp_nle_f32_e64 s[16:17], s80, v38
	v_cndmask_b32_e64 v38, v12, v44, s[2:3]
	v_cmp_nge_f32_e64 s[2:3], s81, v29
	v_and_b32_e32 v31, 0xffff0000, v31
	v_mul_f32_e32 v46, v15, v46
	v_rndne_f32_e32 v30, v30
	v_cmp_nle_f32_e64 s[18:19], s80, v23
	v_cndmask_b32_e64 v23, v12, v29, s[2:3]
	v_cmp_nge_f32_e64 s[2:3], s81, v41
	v_mul_f32_e32 v31, v15, v31
	v_rndne_f32_e32 v46, v46
	v_cmp_nle_f32_e64 s[20:21], s80, v37
	v_cndmask_b32_e64 v37, v12, v41, s[2:3]
	v_cmp_nge_f32_e64 s[2:3], s81, v30
	v_and_b32_e32 v32, 0xffff0000, v32
	v_mul_f32_e32 v45, v15, v45
	v_rndne_f32_e32 v31, v31
	v_cmp_nle_f32_e64 s[22:23], s80, v24
	v_cndmask_b32_e64 v24, v12, v30, s[2:3]
	v_cmp_nge_f32_e64 s[2:3], s81, v46
	v_lshlrev_b32_e32 v48, 16, v33
	v_mul_f32_e32 v32, v15, v32
	v_rndne_f32_e32 v45, v45
	v_cmp_nle_f32_e64 s[24:25], s80, v40
	v_cndmask_b32_e64 v40, v12, v46, s[2:3]
	v_cmp_nge_f32_e64 s[2:3], s81, v31
	v_and_b32_e32 v33, 0xffff0000, v33
	v_mul_f32_e32 v48, v15, v48
	v_rndne_f32_e32 v32, v32
	v_cmp_nle_f32_e64 s[26:27], s80, v25
	v_cndmask_b32_e64 v25, v12, v31, s[2:3]
	v_cmp_nge_f32_e64 s[2:3], s81, v45
	v_mul_f32_e32 v33, v15, v33
	v_rndne_f32_e32 v48, v48
	v_cmp_nle_f32_e64 s[28:29], s80, v39
	v_cndmask_b32_e64 v39, v12, v45, s[2:3]
	v_cmp_nge_f32_e64 s[2:3], s81, v32
	v_rndne_f32_e32 v33, v33
	v_cmp_nle_f32_e64 s[30:31], s80, v26
	v_cndmask_b32_e64 v26, v12, v32, s[2:3]
	v_cmp_nge_f32_e64 s[2:3], s81, v48
	v_cmp_nle_f32_e64 s[34:35], s80, v42
	v_cndmask_b32_e64 v42, v12, v48, s[2:3]
	v_cmp_nge_f32_e64 s[2:3], s81, v33
	;; [unrolled: 3-line block ×3, first 2 shown]
	v_cvt_i32_f32_e32 v47, v47
	v_cvt_i32_f32_e32 v50, v50
	;; [unrolled: 1-line block ×3, first 2 shown]
	v_cmp_nle_f32_e64 s[38:39], s80, v43
	v_cndmask_b32_e64 v43, v12, v18, s[2:3]
	v_cvt_i32_f32_e32 v56, v56
	v_cvt_i32_f32_e32 v27, v27
	;; [unrolled: 1-line block ×19, first 2 shown]
	v_cmp_nle_f32_e64 s[2:3], s80, v28
	v_cvt_i32_f32_e32 v28, v38
	v_cvt_i32_f32_e32 v23, v23
	v_cmp_nle_f32_e64 s[42:43], s80, v29
	v_cvt_i32_f32_e32 v29, v37
	v_cvt_i32_f32_e32 v24, v24
	;; [unrolled: 3-line block ×4, first 2 shown]
	v_cmp_nle_f32_e64 s[54:55], s80, v32
	v_cvt_i32_f32_e32 v32, v42
	v_cmp_nle_f32_e64 s[58:59], s80, v33
	v_cvt_i32_f32_e32 v33, v43
	v_cmp_nle_f32_e64 s[62:63], s80, v1
	v_cmp_nle_f32_e64 s[40:41], s80, v44
	;; [unrolled: 1-line block ×7, first 2 shown]
	v_cndmask_b32_e64 v1, v13, v56, s[62:63]
	v_cndmask_b32_e32 v18, v13, v47, vcc
	v_cndmask_b32_e64 v37, v13, v50, s[0:1]
	v_cndmask_b32_e64 v38, v13, v51, s[4:5]
	;; [unrolled: 1-line block ×30, first 2 shown]
	v_add_u32_e32 v1, s84, v1
	v_add_u32_e32 v18, s84, v18
	;; [unrolled: 1-line block ×32, first 2 shown]
	v_med3_i32 v1, v1, s82, v14
	v_med3_i32 v18, v18, s82, v14
	;; [unrolled: 1-line block ×32, first 2 shown]
	v_perm_b32 v1, v1, v18, s73
	v_perm_b32 v18, v37, v38, s73
	v_lshlrev_b16_e32 v27, 8, v27
	v_perm_b32 v37, v39, v40, s73
	v_perm_b32 v38, v41, v42, s73
	;; [unrolled: 1-line block ×13, first 2 shown]
	v_lshl_or_b32 v18, v18, 16, v1
	v_or_b32_sdwa v1, v32, v27 dst_sel:WORD_1 dst_unused:UNUSED_PAD src0_sel:BYTE_0 src1_sel:DWORD
	v_lshl_or_b32 v19, v38, 16, v37
	v_lshl_or_b32 v20, v40, 16, v39
	;; [unrolled: 1-line block ×6, first 2 shown]
	v_or_b32_e32 v25, v26, v1
	global_store_dwordx4 v[5:6], v[18:21], off
	global_store_dwordx4 v[7:8], v[22:25], off
	s_andn2_b64 exec, exec, s[76:77]
	s_cbranch_execnz .LBB5_102
; %bb.103:
	s_or_b64 exec, exec, s[76:77]
	v_cmp_ne_u32_e32 vcc, v9, v10
	v_add_u32_e32 v0, v0, v10
	s_orn2_b64 s[0:1], vcc, exec
.LBB5_104:
	s_or_b64 exec, exec, s[74:75]
	s_and_b64 exec, exec, s[0:1]
	s_cbranch_execz .LBB5_171
; %bb.105:
	v_mov_b32_e32 v1, 0
	v_lshlrev_b64 v[2:3], 4, v[0:1]
	s_add_u32 s0, s66, s70
	s_addc_u32 s1, s67, s71
	v_mov_b32_e32 v4, s1
	v_add_co_u32_e32 v2, vcc, s0, v2
	v_addc_co_u32_e32 v3, vcc, v4, v3, vcc
	s_lshl_b32 s6, s33, 4
	v_add_co_u32_e32 v9, vcc, 7, v2
	v_lshlrev_b64 v[1:2], 5, v[0:1]
	s_add_u32 s0, s64, s68
	v_addc_co_u32_e32 v10, vcc, 0, v3, vcc
	s_addc_u32 s1, s65, s69
	v_mov_b32_e32 v3, s1
	v_add_co_u32_e32 v11, vcc, s0, v1
	v_addc_co_u32_e32 v12, vcc, v3, v2, vcc
	s_lshl_b32 s7, s33, 5
	s_mov_b64 s[0:1], 0
	s_mov_b32 s8, 0x4f000000
	s_mov_b32 s9, 0xcf000000
	s_movk_i32 s10, 0xff80
	v_mov_b32_e32 v13, 0x7f
	s_branch .LBB5_108
.LBB5_106:                              ;   in Loop: Header=BB5_108 Depth=1
	s_or_b64 exec, exec, s[4:5]
.LBB5_107:                              ;   in Loop: Header=BB5_108 Depth=1
	s_or_b64 exec, exec, s[2:3]
	v_add_u32_e32 v22, s84, v22
	v_add_u32_e32 v3, s84, v3
	;; [unrolled: 1-line block ×3, first 2 shown]
	v_med3_i32 v22, v22, s10, v13
	v_add_u32_e32 v2, s84, v2
	v_med3_i32 v3, v3, s10, v13
	v_med3_i32 v4, v4, s10, v13
	v_med3_i32 v2, v2, s10, v13
	v_add_u32_e32 v21, s84, v21
	v_add_u32_e32 v20, s84, v20
	v_lshlrev_b16_e32 v22, 8, v22
	v_lshlrev_b16_e32 v3, 8, v3
	v_med3_i32 v21, v21, s10, v13
	v_add_u32_e32 v1, s84, v1
	v_med3_i32 v20, v20, s10, v13
	v_add_u32_e32 v8, s84, v8
	v_or_b32_sdwa v2, v2, v22 dst_sel:DWORD dst_unused:UNUSED_PAD src0_sel:BYTE_0 src1_sel:DWORD
	v_or_b32_sdwa v3, v4, v3 dst_sel:WORD_1 dst_unused:UNUSED_PAD src0_sel:BYTE_0 src1_sel:DWORD
	v_med3_i32 v1, v1, s10, v13
	v_med3_i32 v8, v8, s10, v13
	v_add_u32_e32 v19, s84, v19
	v_add_u32_e32 v18, s84, v18
	v_or_b32_sdwa v4, v2, v3 dst_sel:DWORD dst_unused:UNUSED_PAD src0_sel:WORD_0 src1_sel:DWORD
	v_lshlrev_b16_e32 v2, 8, v20
	v_lshlrev_b16_e32 v3, 8, v21
	v_med3_i32 v19, v19, s10, v13
	v_add_u32_e32 v7, s84, v7
	v_med3_i32 v18, v18, s10, v13
	v_add_u32_e32 v6, s84, v6
	v_or_b32_sdwa v2, v8, v2 dst_sel:DWORD dst_unused:UNUSED_PAD src0_sel:BYTE_0 src1_sel:DWORD
	v_or_b32_sdwa v1, v1, v3 dst_sel:WORD_1 dst_unused:UNUSED_PAD src0_sel:BYTE_0 src1_sel:DWORD
	v_med3_i32 v7, v7, s10, v13
	v_med3_i32 v6, v6, s10, v13
	v_add_u32_e32 v17, s84, v17
	v_add_u32_e32 v14, s84, v14
	v_or_b32_sdwa v3, v2, v1 dst_sel:DWORD dst_unused:UNUSED_PAD src0_sel:WORD_0 src1_sel:DWORD
	v_lshlrev_b16_e32 v1, 8, v18
	v_lshlrev_b16_e32 v2, 8, v19
	v_med3_i32 v17, v17, s10, v13
	v_add_u32_e32 v5, s84, v5
	v_med3_i32 v14, v14, s10, v13
	v_add_u32_e32 v16, s84, v16
	v_or_b32_sdwa v1, v6, v1 dst_sel:DWORD dst_unused:UNUSED_PAD src0_sel:BYTE_0 src1_sel:DWORD
	v_or_b32_sdwa v2, v7, v2 dst_sel:WORD_1 dst_unused:UNUSED_PAD src0_sel:BYTE_0 src1_sel:DWORD
	v_med3_i32 v5, v5, s10, v13
	v_med3_i32 v16, v16, s10, v13
	v_or_b32_sdwa v2, v1, v2 dst_sel:DWORD dst_unused:UNUSED_PAD src0_sel:WORD_0 src1_sel:DWORD
	v_lshlrev_b16_e32 v1, 8, v14
	v_lshlrev_b16_e32 v6, 8, v17
	v_or_b32_sdwa v1, v16, v1 dst_sel:DWORD dst_unused:UNUSED_PAD src0_sel:BYTE_0 src1_sel:DWORD
	v_or_b32_sdwa v5, v5, v6 dst_sel:WORD_1 dst_unused:UNUSED_PAD src0_sel:BYTE_0 src1_sel:DWORD
	v_or_b32_sdwa v1, v1, v5 dst_sel:DWORD dst_unused:UNUSED_PAD src0_sel:WORD_0 src1_sel:DWORD
	global_store_dwordx4 v[9:10], v[1:4], off offset:-7
	v_add_co_u32_e32 v9, vcc, s6, v9
	v_add_u32_e32 v0, s33, v0
	v_addc_co_u32_e32 v10, vcc, 0, v10, vcc
	v_cmp_le_i32_e32 vcc, s78, v0
	s_or_b64 s[0:1], vcc, s[0:1]
	v_add_co_u32_e32 v11, vcc, s7, v11
	v_addc_co_u32_e32 v12, vcc, 0, v12, vcc
	s_andn2_b64 exec, exec, s[0:1]
	s_cbranch_execz .LBB5_171
.LBB5_108:                              ; =>This Inner Loop Header: Depth=1
	global_load_dwordx4 v[5:8], v[11:12], off
	global_load_dwordx4 v[1:4], v[11:12], off offset:16
	v_bfrev_b32_e32 v14, -2
	s_waitcnt vmcnt(1)
	v_lshlrev_b32_e32 v16, 16, v5
	v_mul_f32_e32 v16, v15, v16
	v_rndne_f32_e32 v17, v16
	v_cmp_nle_f32_e32 vcc, s8, v17
	v_bfrev_b32_e32 v16, -2
	s_and_saveexec_b64 s[2:3], vcc
	s_cbranch_execz .LBB5_112
; %bb.109:                              ;   in Loop: Header=BB5_108 Depth=1
	v_cmp_nge_f32_e32 vcc, s9, v17
	v_bfrev_b32_e32 v16, 1
	s_and_saveexec_b64 s[4:5], vcc
; %bb.110:                              ;   in Loop: Header=BB5_108 Depth=1
	v_cvt_i32_f32_e32 v16, v17
; %bb.111:                              ;   in Loop: Header=BB5_108 Depth=1
	s_or_b64 exec, exec, s[4:5]
.LBB5_112:                              ;   in Loop: Header=BB5_108 Depth=1
	s_or_b64 exec, exec, s[2:3]
	v_and_b32_e32 v5, 0xffff0000, v5
	v_mul_f32_e32 v5, v15, v5
	v_rndne_f32_e32 v5, v5
	v_cmp_nle_f32_e32 vcc, s8, v5
	s_and_saveexec_b64 s[2:3], vcc
	s_cbranch_execz .LBB5_116
; %bb.113:                              ;   in Loop: Header=BB5_108 Depth=1
	v_cmp_nge_f32_e32 vcc, s9, v5
	v_bfrev_b32_e32 v14, 1
	s_and_saveexec_b64 s[4:5], vcc
; %bb.114:                              ;   in Loop: Header=BB5_108 Depth=1
	v_cvt_i32_f32_e32 v14, v5
; %bb.115:                              ;   in Loop: Header=BB5_108 Depth=1
	s_or_b64 exec, exec, s[4:5]
.LBB5_116:                              ;   in Loop: Header=BB5_108 Depth=1
	s_or_b64 exec, exec, s[2:3]
	v_lshlrev_b32_e32 v5, 16, v6
	v_mul_f32_e32 v5, v15, v5
	v_rndne_f32_e32 v18, v5
	v_cmp_nle_f32_e32 vcc, s8, v18
	v_bfrev_b32_e32 v17, -2
	v_bfrev_b32_e32 v5, -2
	s_and_saveexec_b64 s[2:3], vcc
	s_cbranch_execz .LBB5_120
; %bb.117:                              ;   in Loop: Header=BB5_108 Depth=1
	v_cmp_nge_f32_e32 vcc, s9, v18
	v_bfrev_b32_e32 v5, 1
	s_and_saveexec_b64 s[4:5], vcc
; %bb.118:                              ;   in Loop: Header=BB5_108 Depth=1
	v_cvt_i32_f32_e32 v5, v18
; %bb.119:                              ;   in Loop: Header=BB5_108 Depth=1
	s_or_b64 exec, exec, s[4:5]
.LBB5_120:                              ;   in Loop: Header=BB5_108 Depth=1
	s_or_b64 exec, exec, s[2:3]
	v_and_b32_e32 v6, 0xffff0000, v6
	v_mul_f32_e32 v6, v15, v6
	v_rndne_f32_e32 v6, v6
	v_cmp_nle_f32_e32 vcc, s8, v6
	s_and_saveexec_b64 s[2:3], vcc
	s_cbranch_execz .LBB5_124
; %bb.121:                              ;   in Loop: Header=BB5_108 Depth=1
	v_cmp_nge_f32_e32 vcc, s9, v6
	v_bfrev_b32_e32 v17, 1
	s_and_saveexec_b64 s[4:5], vcc
; %bb.122:                              ;   in Loop: Header=BB5_108 Depth=1
	v_cvt_i32_f32_e32 v17, v6
; %bb.123:                              ;   in Loop: Header=BB5_108 Depth=1
	s_or_b64 exec, exec, s[4:5]
.LBB5_124:                              ;   in Loop: Header=BB5_108 Depth=1
	s_or_b64 exec, exec, s[2:3]
	v_lshlrev_b32_e32 v6, 16, v7
	v_mul_f32_e32 v6, v15, v6
	v_rndne_f32_e32 v19, v6
	v_cmp_nle_f32_e32 vcc, s8, v19
	v_bfrev_b32_e32 v18, -2
	;; [unrolled: 34-line block ×3, first 2 shown]
	v_bfrev_b32_e32 v7, -2
	s_and_saveexec_b64 s[2:3], vcc
	s_cbranch_execz .LBB5_136
; %bb.133:                              ;   in Loop: Header=BB5_108 Depth=1
	v_cmp_nge_f32_e32 vcc, s9, v20
	v_bfrev_b32_e32 v7, 1
	s_and_saveexec_b64 s[4:5], vcc
; %bb.134:                              ;   in Loop: Header=BB5_108 Depth=1
	v_cvt_i32_f32_e32 v7, v20
; %bb.135:                              ;   in Loop: Header=BB5_108 Depth=1
	s_or_b64 exec, exec, s[4:5]
.LBB5_136:                              ;   in Loop: Header=BB5_108 Depth=1
	s_or_b64 exec, exec, s[2:3]
	v_and_b32_e32 v8, 0xffff0000, v8
	v_mul_f32_e32 v8, v15, v8
	v_rndne_f32_e32 v8, v8
	v_cmp_nle_f32_e32 vcc, s8, v8
	s_and_saveexec_b64 s[2:3], vcc
	s_cbranch_execz .LBB5_140
; %bb.137:                              ;   in Loop: Header=BB5_108 Depth=1
	v_cmp_nge_f32_e32 vcc, s9, v8
	v_bfrev_b32_e32 v19, 1
	s_and_saveexec_b64 s[4:5], vcc
; %bb.138:                              ;   in Loop: Header=BB5_108 Depth=1
	v_cvt_i32_f32_e32 v19, v8
; %bb.139:                              ;   in Loop: Header=BB5_108 Depth=1
	s_or_b64 exec, exec, s[4:5]
.LBB5_140:                              ;   in Loop: Header=BB5_108 Depth=1
	s_or_b64 exec, exec, s[2:3]
	s_waitcnt vmcnt(0)
	v_lshlrev_b32_e32 v8, 16, v1
	v_mul_f32_e32 v8, v15, v8
	v_rndne_f32_e32 v21, v8
	v_cmp_nle_f32_e32 vcc, s8, v21
	v_bfrev_b32_e32 v20, -2
	v_bfrev_b32_e32 v8, -2
	s_and_saveexec_b64 s[2:3], vcc
	s_cbranch_execz .LBB5_144
; %bb.141:                              ;   in Loop: Header=BB5_108 Depth=1
	v_cmp_nge_f32_e32 vcc, s9, v21
	v_bfrev_b32_e32 v8, 1
	s_and_saveexec_b64 s[4:5], vcc
; %bb.142:                              ;   in Loop: Header=BB5_108 Depth=1
	v_cvt_i32_f32_e32 v8, v21
; %bb.143:                              ;   in Loop: Header=BB5_108 Depth=1
	s_or_b64 exec, exec, s[4:5]
.LBB5_144:                              ;   in Loop: Header=BB5_108 Depth=1
	s_or_b64 exec, exec, s[2:3]
	v_and_b32_e32 v1, 0xffff0000, v1
	v_mul_f32_e32 v1, v15, v1
	v_rndne_f32_e32 v1, v1
	v_cmp_nle_f32_e32 vcc, s8, v1
	s_and_saveexec_b64 s[2:3], vcc
	s_cbranch_execz .LBB5_148
; %bb.145:                              ;   in Loop: Header=BB5_108 Depth=1
	v_cmp_nge_f32_e32 vcc, s9, v1
	v_bfrev_b32_e32 v20, 1
	s_and_saveexec_b64 s[4:5], vcc
; %bb.146:                              ;   in Loop: Header=BB5_108 Depth=1
	v_cvt_i32_f32_e32 v20, v1
; %bb.147:                              ;   in Loop: Header=BB5_108 Depth=1
	s_or_b64 exec, exec, s[4:5]
.LBB5_148:                              ;   in Loop: Header=BB5_108 Depth=1
	s_or_b64 exec, exec, s[2:3]
	v_lshlrev_b32_e32 v1, 16, v2
	v_mul_f32_e32 v1, v15, v1
	v_rndne_f32_e32 v22, v1
	v_cmp_nle_f32_e32 vcc, s8, v22
	v_bfrev_b32_e32 v21, -2
	v_bfrev_b32_e32 v1, -2
	s_and_saveexec_b64 s[2:3], vcc
	s_cbranch_execz .LBB5_152
; %bb.149:                              ;   in Loop: Header=BB5_108 Depth=1
	v_cmp_nge_f32_e32 vcc, s9, v22
	v_bfrev_b32_e32 v1, 1
	s_and_saveexec_b64 s[4:5], vcc
; %bb.150:                              ;   in Loop: Header=BB5_108 Depth=1
	v_cvt_i32_f32_e32 v1, v22
; %bb.151:                              ;   in Loop: Header=BB5_108 Depth=1
	s_or_b64 exec, exec, s[4:5]
.LBB5_152:                              ;   in Loop: Header=BB5_108 Depth=1
	s_or_b64 exec, exec, s[2:3]
	v_and_b32_e32 v2, 0xffff0000, v2
	v_mul_f32_e32 v2, v15, v2
	v_rndne_f32_e32 v2, v2
	v_cmp_nle_f32_e32 vcc, s8, v2
	s_and_saveexec_b64 s[2:3], vcc
	s_cbranch_execz .LBB5_156
; %bb.153:                              ;   in Loop: Header=BB5_108 Depth=1
	v_cmp_nge_f32_e32 vcc, s9, v2
	v_bfrev_b32_e32 v21, 1
	s_and_saveexec_b64 s[4:5], vcc
; %bb.154:                              ;   in Loop: Header=BB5_108 Depth=1
	v_cvt_i32_f32_e32 v21, v2
; %bb.155:                              ;   in Loop: Header=BB5_108 Depth=1
	s_or_b64 exec, exec, s[4:5]
.LBB5_156:                              ;   in Loop: Header=BB5_108 Depth=1
	s_or_b64 exec, exec, s[2:3]
	;; [unrolled: 34-line block ×3, first 2 shown]
	v_lshlrev_b32_e32 v3, 16, v4
	v_mul_f32_e32 v3, v15, v3
	v_rndne_f32_e32 v24, v3
	v_cmp_nle_f32_e32 vcc, s8, v24
	v_bfrev_b32_e32 v3, -2
	v_bfrev_b32_e32 v23, -2
	s_and_saveexec_b64 s[2:3], vcc
	s_cbranch_execz .LBB5_168
; %bb.165:                              ;   in Loop: Header=BB5_108 Depth=1
	v_cmp_nge_f32_e32 vcc, s9, v24
	v_bfrev_b32_e32 v23, 1
	s_and_saveexec_b64 s[4:5], vcc
; %bb.166:                              ;   in Loop: Header=BB5_108 Depth=1
	v_cvt_i32_f32_e32 v23, v24
; %bb.167:                              ;   in Loop: Header=BB5_108 Depth=1
	s_or_b64 exec, exec, s[4:5]
.LBB5_168:                              ;   in Loop: Header=BB5_108 Depth=1
	s_or_b64 exec, exec, s[2:3]
	v_and_b32_e32 v4, 0xffff0000, v4
	v_mul_f32_e32 v4, v15, v4
	v_rndne_f32_e32 v4, v4
	v_cmp_nle_f32_e32 vcc, s8, v4
	s_and_saveexec_b64 s[2:3], vcc
	s_cbranch_execz .LBB5_107
; %bb.169:                              ;   in Loop: Header=BB5_108 Depth=1
	v_cmp_nge_f32_e32 vcc, s9, v4
	v_bfrev_b32_e32 v3, 1
	s_and_saveexec_b64 s[4:5], vcc
	s_cbranch_execz .LBB5_106
; %bb.170:                              ;   in Loop: Header=BB5_108 Depth=1
	v_cvt_i32_f32_e32 v3, v4
	s_branch .LBB5_106
.LBB5_171:
	s_endpgm
	.section	.rodata,"a",@progbits
	.p2align	6, 0x0
	.amdhsa_kernel _ZN4vllm35static_scaled_int8_azp_quant_kernelIN3c108BFloat16EfiEEvPKT_PaPKT0_PKT1_i
		.amdhsa_group_segment_fixed_size 0
		.amdhsa_private_segment_fixed_size 0
		.amdhsa_kernarg_size 296
		.amdhsa_user_sgpr_count 6
		.amdhsa_user_sgpr_private_segment_buffer 1
		.amdhsa_user_sgpr_dispatch_ptr 0
		.amdhsa_user_sgpr_queue_ptr 0
		.amdhsa_user_sgpr_kernarg_segment_ptr 1
		.amdhsa_user_sgpr_dispatch_id 0
		.amdhsa_user_sgpr_flat_scratch_init 0
		.amdhsa_user_sgpr_private_segment_size 0
		.amdhsa_uses_dynamic_stack 0
		.amdhsa_system_sgpr_private_segment_wavefront_offset 0
		.amdhsa_system_sgpr_workgroup_id_x 1
		.amdhsa_system_sgpr_workgroup_id_y 0
		.amdhsa_system_sgpr_workgroup_id_z 0
		.amdhsa_system_sgpr_workgroup_info 0
		.amdhsa_system_vgpr_workitem_id 0
		.amdhsa_next_free_vgpr 63
		.amdhsa_next_free_sgpr 96
		.amdhsa_reserve_vcc 1
		.amdhsa_reserve_flat_scratch 0
		.amdhsa_float_round_mode_32 0
		.amdhsa_float_round_mode_16_64 0
		.amdhsa_float_denorm_mode_32 3
		.amdhsa_float_denorm_mode_16_64 3
		.amdhsa_dx10_clamp 1
		.amdhsa_ieee_mode 1
		.amdhsa_fp16_overflow 0
		.amdhsa_exception_fp_ieee_invalid_op 0
		.amdhsa_exception_fp_denorm_src 0
		.amdhsa_exception_fp_ieee_div_zero 0
		.amdhsa_exception_fp_ieee_overflow 0
		.amdhsa_exception_fp_ieee_underflow 0
		.amdhsa_exception_fp_ieee_inexact 0
		.amdhsa_exception_int_div_zero 0
	.end_amdhsa_kernel
	.section	.text._ZN4vllm35static_scaled_int8_azp_quant_kernelIN3c108BFloat16EfiEEvPKT_PaPKT0_PKT1_i,"axG",@progbits,_ZN4vllm35static_scaled_int8_azp_quant_kernelIN3c108BFloat16EfiEEvPKT_PaPKT0_PKT1_i,comdat
.Lfunc_end5:
	.size	_ZN4vllm35static_scaled_int8_azp_quant_kernelIN3c108BFloat16EfiEEvPKT_PaPKT0_PKT1_i, .Lfunc_end5-_ZN4vllm35static_scaled_int8_azp_quant_kernelIN3c108BFloat16EfiEEvPKT_PaPKT0_PKT1_i
                                        ; -- End function
	.set _ZN4vllm35static_scaled_int8_azp_quant_kernelIN3c108BFloat16EfiEEvPKT_PaPKT0_PKT1_i.num_vgpr, 63
	.set _ZN4vllm35static_scaled_int8_azp_quant_kernelIN3c108BFloat16EfiEEvPKT_PaPKT0_PKT1_i.num_agpr, 0
	.set _ZN4vllm35static_scaled_int8_azp_quant_kernelIN3c108BFloat16EfiEEvPKT_PaPKT0_PKT1_i.numbered_sgpr, 96
	.set _ZN4vllm35static_scaled_int8_azp_quant_kernelIN3c108BFloat16EfiEEvPKT_PaPKT0_PKT1_i.num_named_barrier, 0
	.set _ZN4vllm35static_scaled_int8_azp_quant_kernelIN3c108BFloat16EfiEEvPKT_PaPKT0_PKT1_i.private_seg_size, 0
	.set _ZN4vllm35static_scaled_int8_azp_quant_kernelIN3c108BFloat16EfiEEvPKT_PaPKT0_PKT1_i.uses_vcc, 1
	.set _ZN4vllm35static_scaled_int8_azp_quant_kernelIN3c108BFloat16EfiEEvPKT_PaPKT0_PKT1_i.uses_flat_scratch, 0
	.set _ZN4vllm35static_scaled_int8_azp_quant_kernelIN3c108BFloat16EfiEEvPKT_PaPKT0_PKT1_i.has_dyn_sized_stack, 0
	.set _ZN4vllm35static_scaled_int8_azp_quant_kernelIN3c108BFloat16EfiEEvPKT_PaPKT0_PKT1_i.has_recursion, 0
	.set _ZN4vllm35static_scaled_int8_azp_quant_kernelIN3c108BFloat16EfiEEvPKT_PaPKT0_PKT1_i.has_indirect_call, 0
	.section	.AMDGPU.csdata,"",@progbits
; Kernel info:
; codeLenInByte = 8924
; TotalNumSgprs: 100
; NumVgprs: 63
; ScratchSize: 0
; MemoryBound: 0
; FloatMode: 240
; IeeeMode: 1
; LDSByteSize: 0 bytes/workgroup (compile time only)
; SGPRBlocks: 12
; VGPRBlocks: 15
; NumSGPRsForWavesPerEU: 100
; NumVGPRsForWavesPerEU: 63
; Occupancy: 4
; WaveLimiterHint : 0
; COMPUTE_PGM_RSRC2:SCRATCH_EN: 0
; COMPUTE_PGM_RSRC2:USER_SGPR: 6
; COMPUTE_PGM_RSRC2:TRAP_HANDLER: 0
; COMPUTE_PGM_RSRC2:TGID_X_EN: 1
; COMPUTE_PGM_RSRC2:TGID_Y_EN: 0
; COMPUTE_PGM_RSRC2:TGID_Z_EN: 0
; COMPUTE_PGM_RSRC2:TIDIG_COMP_CNT: 0
	.section	.text._ZN4vllm32dynamic_scaled_int8_quant_kernelIffEEvPKT_PaPT0_i,"axG",@progbits,_ZN4vllm32dynamic_scaled_int8_quant_kernelIffEEvPKT_PaPT0_i,comdat
	.protected	_ZN4vllm32dynamic_scaled_int8_quant_kernelIffEEvPKT_PaPT0_i ; -- Begin function _ZN4vllm32dynamic_scaled_int8_quant_kernelIffEEvPKT_PaPT0_i
	.globl	_ZN4vllm32dynamic_scaled_int8_quant_kernelIffEEvPKT_PaPT0_i
	.p2align	8
	.type	_ZN4vllm32dynamic_scaled_int8_quant_kernelIffEEvPKT_PaPT0_i,@function
_ZN4vllm32dynamic_scaled_int8_quant_kernelIffEEvPKT_PaPT0_i: ; @_ZN4vllm32dynamic_scaled_int8_quant_kernelIffEEvPKT_PaPT0_i
; %bb.0:
	s_load_dword s48, s[4:5], 0x18
	s_load_dword s0, s[4:5], 0x2c
	s_load_dwordx2 s[34:35], s[4:5], 0x0
	s_mov_b32 s15, 0
	s_waitcnt lgkmcnt(0)
	s_ashr_i32 s1, s48, 31
	s_and_b32 s33, s0, 0xffff
	s_mul_hi_u32 s0, s48, s6
	s_mul_i32 s1, s1, s6
	s_add_i32 s39, s0, s1
	s_mul_i32 s38, s48, s6
	s_lshl_b64 s[36:37], s[38:39], 2
	s_add_u32 s16, s34, s36
	s_and_b32 s14, s16, 63
	s_cmp_lg_u64 s[14:15], 0
	s_cselect_b64 s[0:1], -1, 0
	s_and_b32 s2, s48, 15
	s_cmp_lg_u32 s2, 0
	s_cselect_b64 s[2:3], -1, 0
	s_or_b64 s[12:13], s[2:3], s[0:1]
	s_and_b64 vcc, exec, s[12:13]
	s_cbranch_vccz .LBB6_14
; %bb.1:
	s_sub_i32 s0, 0, s16
	s_bfe_u32 s0, s0, 0x40002
	s_min_i32 s0, s0, s48
	v_cmp_gt_i32_e32 vcc, s0, v0
	v_mov_b32_e32 v4, 0
	s_and_saveexec_b64 s[2:3], vcc
	s_cbranch_execz .LBB6_5
; %bb.2:
	s_add_u32 s1, s34, s36
	v_lshlrev_b32_e32 v1, 2, v0
	s_addc_u32 s7, s35, s37
	v_mov_b32_e32 v2, s7
	v_add_co_u32_e32 v1, vcc, s1, v1
	v_mov_b32_e32 v4, 0
	v_addc_co_u32_e32 v2, vcc, 0, v2, vcc
	s_lshl_b32 s1, s33, 2
	s_mov_b64 s[8:9], 0
	v_mov_b32_e32 v3, v0
.LBB6_3:                                ; =>This Inner Loop Header: Depth=1
	global_load_dword v5, v[1:2], off
	v_add_co_u32_e32 v1, vcc, s1, v1
	v_add_u32_e32 v3, s33, v3
	v_addc_co_u32_e32 v2, vcc, 0, v2, vcc
	v_max_f32_e32 v4, v4, v4
	v_cmp_le_i32_e32 vcc, s0, v3
	s_or_b64 s[8:9], vcc, s[8:9]
	s_waitcnt vmcnt(0)
	v_max_f32_e64 v5, |v5|, |v5|
	v_max_f32_e32 v4, v4, v5
	s_andn2_b64 exec, exec, s[8:9]
	s_cbranch_execnz .LBB6_3
; %bb.4:
	s_or_b64 exec, exec, s[8:9]
.LBB6_5:
	s_or_b64 exec, exec, s[2:3]
	s_sub_i32 s7, s48, s0
	s_ashr_i32 s2, s7, 31
	s_lshr_b32 s2, s2, 28
	s_add_i32 s2, s7, s2
	s_ashr_i32 s10, s2, 4
	s_ashr_i32 s1, s0, 31
	v_cmp_gt_i32_e32 vcc, s10, v0
	s_and_saveexec_b64 s[2:3], vcc
	s_cbranch_execz .LBB6_9
; %bb.6:
	s_lshl_b64 s[8:9], s[0:1], 2
	s_add_u32 s8, s34, s8
	s_addc_u32 s9, s35, s9
	s_add_u32 s8, s8, s36
	v_lshlrev_b32_e32 v1, 6, v0
	s_addc_u32 s9, s9, s37
	v_mov_b32_e32 v2, s9
	v_add_co_u32_e32 v1, vcc, s8, v1
	v_addc_co_u32_e32 v2, vcc, 0, v2, vcc
	s_lshl_b32 s11, s33, 6
	s_mov_b64 s[8:9], 0
	v_mov_b32_e32 v3, v0
.LBB6_7:                                ; =>This Inner Loop Header: Depth=1
	global_load_dwordx4 v[5:8], v[1:2], off
	global_load_dwordx4 v[9:12], v[1:2], off offset:16
	global_load_dwordx4 v[13:16], v[1:2], off offset:32
	global_load_dwordx4 v[17:20], v[1:2], off offset:48
	v_add_co_u32_e32 v1, vcc, s11, v1
	v_add_u32_e32 v3, s33, v3
	v_addc_co_u32_e32 v2, vcc, 0, v2, vcc
	v_cmp_le_i32_e32 vcc, s10, v3
	s_or_b64 s[8:9], vcc, s[8:9]
	s_waitcnt vmcnt(3)
	v_max3_f32 v4, v4, |v5|, |v6|
	v_max3_f32 v4, v4, |v7|, |v8|
	s_waitcnt vmcnt(2)
	v_max3_f32 v4, v4, |v9|, |v10|
	v_max3_f32 v4, v4, |v11|, |v12|
	;; [unrolled: 3-line block ×4, first 2 shown]
	s_andn2_b64 exec, exec, s[8:9]
	s_cbranch_execnz .LBB6_7
; %bb.8:
	s_or_b64 exec, exec, s[8:9]
.LBB6_9:
	s_or_b64 exec, exec, s[2:3]
	v_lshl_add_u32 v1, s10, 4, v0
	v_cmp_gt_i32_e32 vcc, s7, v1
	s_and_saveexec_b64 s[2:3], vcc
	s_cbranch_execz .LBB6_13
; %bb.10:
	s_lshl_b64 s[0:1], s[0:1], 2
	s_add_u32 s0, s36, s0
	s_addc_u32 s1, s37, s1
	v_ashrrev_i32_e32 v2, 31, v1
	v_lshlrev_b64 v[2:3], 2, v[1:2]
	s_add_u32 s0, s34, s0
	s_addc_u32 s1, s35, s1
	v_mov_b32_e32 v5, s1
	v_add_co_u32_e32 v2, vcc, s0, v2
	v_addc_co_u32_e32 v3, vcc, v5, v3, vcc
	s_lshl_b32 s8, s33, 2
	s_mov_b64 s[0:1], 0
.LBB6_11:                               ; =>This Inner Loop Header: Depth=1
	global_load_dword v5, v[2:3], off
	v_add_co_u32_e32 v2, vcc, s8, v2
	v_add_u32_e32 v1, s33, v1
	v_addc_co_u32_e32 v3, vcc, 0, v3, vcc
	v_max_f32_e32 v4, v4, v4
	v_cmp_le_i32_e32 vcc, s7, v1
	s_or_b64 s[0:1], vcc, s[0:1]
	s_waitcnt vmcnt(0)
	v_max_f32_e64 v5, |v5|, |v5|
	v_max_f32_e32 v4, v4, v5
	s_andn2_b64 exec, exec, s[0:1]
	s_cbranch_execnz .LBB6_11
; %bb.12:
	s_or_b64 exec, exec, s[0:1]
.LBB6_13:
	s_or_b64 exec, exec, s[2:3]
	s_branch .LBB6_20
.LBB6_14:
                                        ; implicit-def: $vgpr4
	s_cbranch_execz .LBB6_20
; %bb.15:
	s_ashr_i32 s7, s48, 4
	v_cmp_gt_i32_e32 vcc, s7, v0
	v_mov_b32_e32 v4, 0
	s_and_saveexec_b64 s[0:1], vcc
	s_cbranch_execz .LBB6_19
; %bb.16:
	s_add_u32 s2, s34, s36
	v_lshlrev_b32_e32 v1, 6, v0
	s_addc_u32 s3, s35, s37
	v_mov_b32_e32 v2, s3
	v_add_co_u32_e32 v1, vcc, s2, v1
	v_mov_b32_e32 v4, 0
	v_addc_co_u32_e32 v2, vcc, 0, v2, vcc
	s_lshl_b32 s8, s33, 6
	s_mov_b64 s[2:3], 0
	v_mov_b32_e32 v3, v0
.LBB6_17:                               ; =>This Inner Loop Header: Depth=1
	global_load_dwordx4 v[5:8], v[1:2], off
	global_load_dwordx4 v[9:12], v[1:2], off offset:16
	global_load_dwordx4 v[13:16], v[1:2], off offset:32
	;; [unrolled: 1-line block ×3, first 2 shown]
	v_add_co_u32_e32 v1, vcc, s8, v1
	v_add_u32_e32 v3, s33, v3
	v_addc_co_u32_e32 v2, vcc, 0, v2, vcc
	v_cmp_le_i32_e32 vcc, s7, v3
	s_or_b64 s[2:3], vcc, s[2:3]
	s_waitcnt vmcnt(3)
	v_max3_f32 v4, v4, |v5|, |v6|
	v_max3_f32 v4, v4, |v7|, |v8|
	s_waitcnt vmcnt(2)
	v_max3_f32 v4, v4, |v9|, |v10|
	v_max3_f32 v4, v4, |v11|, |v12|
	;; [unrolled: 3-line block ×4, first 2 shown]
	s_andn2_b64 exec, exec, s[2:3]
	s_cbranch_execnz .LBB6_17
; %bb.18:
	s_or_b64 exec, exec, s[2:3]
.LBB6_19:
	s_or_b64 exec, exec, s[0:1]
.LBB6_20:
	v_mbcnt_lo_u32_b32 v1, -1, 0
	v_mbcnt_hi_u32_b32 v1, -1, v1
	v_and_b32_e32 v2, 63, v1
	v_cmp_ne_u32_e32 vcc, 63, v2
	v_addc_co_u32_e32 v3, vcc, 0, v1, vcc
	v_lshlrev_b32_e32 v3, 2, v3
	ds_bpermute_b32 v3, v3, v4
	v_and_b32_e32 v5, 0x3c0, v0
	v_sub_u32_e64 v5, s33, v5 clamp
	v_add_u32_e32 v6, 1, v1
	v_cmp_gt_u32_e64 s[0:1], 62, v2
	s_waitcnt lgkmcnt(0)
	v_cmp_lt_f32_e32 vcc, v4, v3
	v_cndmask_b32_e32 v3, v4, v3, vcc
	v_cmp_lt_u32_e32 vcc, v6, v5
	v_cndmask_b32_e64 v6, 0, 2, s[0:1]
	v_cndmask_b32_e32 v3, v4, v3, vcc
	v_add_lshl_u32 v6, v6, v1, 2
	ds_bpermute_b32 v6, v6, v3
	v_add_u32_e32 v7, 2, v1
	v_cmp_gt_u32_e64 s[2:3], 60, v2
	v_cmp_gt_u32_e64 s[8:9], 56, v2
	;; [unrolled: 1-line block ×3, first 2 shown]
	s_waitcnt lgkmcnt(0)
	v_cmp_lt_f32_e64 s[0:1], v3, v6
	v_cndmask_b32_e64 v6, v3, v6, s[0:1]
	v_cmp_lt_u32_e64 s[0:1], v7, v5
	v_cndmask_b32_e64 v3, v3, v6, s[0:1]
	v_cndmask_b32_e64 v6, 0, 4, s[2:3]
	v_add_lshl_u32 v6, v6, v1, 2
	ds_bpermute_b32 v6, v6, v3
	v_add_u32_e32 v7, 4, v1
	v_cndmask_b32_e64 v2, 0, 16, s[10:11]
	v_add_lshl_u32 v2, v2, v1, 2
	s_or_b64 s[0:1], vcc, s[0:1]
	s_waitcnt lgkmcnt(0)
	v_cmp_lt_f32_e64 s[2:3], v3, v6
	v_cndmask_b32_e64 v6, v3, v6, s[2:3]
	v_cmp_lt_u32_e64 s[2:3], v7, v5
	v_cndmask_b32_e64 v3, v3, v6, s[2:3]
	v_cndmask_b32_e64 v6, 0, 8, s[8:9]
	v_add_lshl_u32 v6, v6, v1, 2
	ds_bpermute_b32 v6, v6, v3
	v_add_u32_e32 v7, 8, v1
	s_or_b64 s[0:1], s[2:3], s[0:1]
	s_waitcnt lgkmcnt(0)
	v_cmp_lt_f32_e64 s[8:9], v3, v6
	v_cndmask_b32_e64 v6, v3, v6, s[8:9]
	v_cmp_lt_u32_e64 s[8:9], v7, v5
	v_cndmask_b32_e64 v3, v3, v6, s[8:9]
	ds_bpermute_b32 v2, v2, v3
	v_add_u32_e32 v6, 16, v1
	s_or_b64 s[0:1], s[8:9], s[0:1]
	v_add_u32_e32 v7, 32, v1
	s_waitcnt lgkmcnt(0)
	v_cmp_lt_f32_e32 vcc, v3, v2
	v_cndmask_b32_e32 v2, v3, v2, vcc
	v_cmp_lt_u32_e32 vcc, v6, v5
	v_cndmask_b32_e32 v2, v3, v2, vcc
	v_lshlrev_b32_e32 v3, 2, v1
	v_or_b32_e32 v6, 0x80, v3
	ds_bpermute_b32 v6, v6, v2
	s_or_b64 s[2:3], vcc, s[0:1]
	v_cmp_lt_u32_e32 vcc, v7, v5
	s_waitcnt lgkmcnt(0)
	v_cmp_lt_f32_e64 s[0:1], v2, v6
	s_and_b64 s[0:1], vcc, s[0:1]
	v_cndmask_b32_e64 v2, v2, v6, s[0:1]
	s_or_b64 vcc, vcc, s[2:3]
	v_cndmask_b32_e32 v2, v4, v2, vcc
	v_cmp_eq_u32_e32 vcc, 0, v1
	s_and_saveexec_b64 s[0:1], vcc
; %bb.21:
	v_lshrrev_b32_e32 v4, 4, v0
	v_and_b32_e32 v4, 60, v4
	ds_write_b32 v4, v2
; %bb.22:
	s_or_b64 exec, exec, s[0:1]
	v_cmp_gt_u32_e32 vcc, 4, v0
	s_waitcnt lgkmcnt(0)
	s_barrier
	s_and_saveexec_b64 s[8:9], vcc
	s_cbranch_execz .LBB6_24
; %bb.23:
	ds_read_b32 v2, v3
	v_and_b32_e32 v4, 3, v1
	v_cmp_ne_u32_e32 vcc, 3, v4
	v_addc_co_u32_e32 v1, vcc, 0, v1, vcc
	v_lshlrev_b32_e32 v1, 2, v1
	s_waitcnt lgkmcnt(0)
	ds_bpermute_b32 v1, v1, v2
	s_add_i32 s0, s33, 63
	s_lshr_b32 s0, s0, 6
	v_add_u32_e32 v5, 1, v4
	v_or_b32_e32 v3, 8, v3
	s_waitcnt lgkmcnt(0)
	v_cmp_lt_f32_e32 vcc, v2, v1
	v_cndmask_b32_e32 v1, v2, v1, vcc
	v_cmp_gt_u32_e32 vcc, s0, v5
	v_cndmask_b32_e32 v5, v2, v1, vcc
	ds_bpermute_b32 v3, v3, v5
	v_add_u32_e32 v4, 2, v4
	v_cmp_gt_u32_e64 s[0:1], s0, v4
	s_waitcnt lgkmcnt(0)
	v_cmp_lt_f32_e64 s[2:3], v1, v3
	s_and_b64 s[0:1], s[0:1], s[2:3]
	v_cndmask_b32_e64 v1, v1, v3, s[0:1]
	v_cndmask_b32_e32 v2, v2, v1, vcc
.LBB6_24:
	s_or_b64 exec, exec, s[8:9]
	s_load_dwordx2 s[40:41], s[4:5], 0x8
	v_cmp_eq_u32_e32 vcc, 0, v0
	s_and_saveexec_b64 s[0:1], vcc
	s_cbranch_execz .LBB6_26
; %bb.25:
	s_mov_b32 s8, 0x42fe0000
	v_div_scale_f32 v1, s[2:3], s8, s8, v2
	v_div_scale_f32 v3, vcc, v2, s8, v2
	s_load_dwordx2 s[2:3], s[4:5], 0x10
	s_mov_b32 s7, s15
	s_lshl_b64 s[4:5], s[6:7], 2
	s_waitcnt lgkmcnt(0)
	s_add_u32 s2, s2, s4
	s_addc_u32 s3, s3, s5
	v_rcp_f32_e32 v4, v1
	v_fma_f32 v5, -v1, v4, 1.0
	v_fmac_f32_e32 v4, v5, v4
	v_mul_f32_e32 v5, v3, v4
	v_fma_f32 v6, -v1, v5, v3
	v_fmac_f32_e32 v5, v6, v4
	v_fma_f32 v1, -v1, v5, v3
	v_div_fmas_f32 v1, v1, v4, v5
	v_mov_b32_e32 v3, 0
	ds_write_b32 v3, v2 offset:16
	v_div_fixup_f32 v1, v1, s8, v2
	global_store_dword v3, v1, s[2:3]
.LBB6_26:
	s_or_b64 exec, exec, s[0:1]
	v_mov_b32_e32 v1, 0
	s_waitcnt vmcnt(0) lgkmcnt(0)
	s_barrier
	ds_read_b32 v1, v1 offset:16
	s_mov_b32 s4, 0x42fe0000
	s_mov_b64 s[2:3], -1
	s_waitcnt lgkmcnt(0)
	v_div_scale_f32 v2, s[0:1], v1, v1, s4
	v_div_scale_f32 v3, vcc, s4, v1, s4
	v_cmp_neq_f32_e64 s[0:1], 0, v1
	v_rcp_f32_e32 v4, v2
	v_fma_f32 v5, -v2, v4, 1.0
	v_fmac_f32_e32 v4, v5, v4
	v_mul_f32_e32 v5, v3, v4
	v_fma_f32 v6, -v2, v5, v3
	v_fmac_f32_e32 v5, v6, v4
	v_fma_f32 v2, -v2, v5, v3
	v_div_fmas_f32 v2, v2, v4, v5
	s_and_b64 vcc, exec, s[12:13]
	v_div_fixup_f32 v2, v2, v1, s4
	v_cndmask_b32_e64 v6, 0, v2, s[0:1]
	s_cbranch_vccz .LBB6_37
; %bb.27:
	s_sub_i32 s0, 0, s16
	s_bfe_u32 s0, s0, 0x40002
	s_min_i32 s42, s0, s48
	v_cmp_gt_i32_e32 vcc, s42, v0
	s_and_saveexec_b64 s[2:3], vcc
	s_cbranch_execz .LBB6_30
; %bb.28:
	s_add_u32 s6, s40, s38
	s_addc_u32 s0, s41, s39
	s_add_u32 s1, s34, s36
	v_mov_b32_e32 v1, 0
	v_lshlrev_b32_e32 v2, 2, v0
	s_addc_u32 s4, s35, s37
	v_mov_b32_e32 v3, s4
	v_add_co_u32_e32 v2, vcc, s1, v2
	v_mov_b32_e32 v5, v1
	v_addc_co_u32_e32 v3, vcc, 0, v3, vcc
	s_lshl_b32 s7, s33, 2
	s_mov_b64 s[4:5], 0
	v_mov_b32_e32 v7, s0
	s_mov_b32 s8, 0x42fe0000
	v_mov_b32_e32 v8, 0x42fe0000
	s_mov_b32 s9, 0xc3000000
	v_mov_b32_e32 v9, 0xc3000000
	v_mov_b32_e32 v4, v0
.LBB6_29:                               ; =>This Inner Loop Header: Depth=1
	global_load_dword v1, v[2:3], off
	v_add_co_u32_e32 v10, vcc, s6, v4
	v_addc_co_u32_e32 v11, vcc, v7, v5, vcc
	v_add_co_u32_e32 v4, vcc, s33, v4
	v_addc_co_u32_e32 v5, vcc, 0, v5, vcc
	;; [unrolled: 2-line block ×3, first 2 shown]
	v_cmp_le_i32_e32 vcc, s42, v4
	s_or_b64 s[4:5], vcc, s[4:5]
	s_waitcnt vmcnt(0)
	v_mul_f32_e32 v1, v6, v1
	v_rndne_f32_e32 v1, v1
	v_cmp_nlt_f32_e64 s[0:1], s8, v1
	v_cndmask_b32_e64 v12, v8, v1, s[0:1]
	v_cmp_ngt_f32_e64 s[0:1], s9, v1
	v_cndmask_b32_e64 v1, v9, v12, s[0:1]
	v_cvt_i32_f32_e32 v1, v1
	global_store_byte v[10:11], v1, off
	s_andn2_b64 exec, exec, s[4:5]
	s_cbranch_execnz .LBB6_29
.LBB6_30:
	s_or_b64 exec, exec, s[2:3]
	s_sub_i32 s49, s48, s42
	s_ashr_i32 s0, s49, 31
	s_lshr_b32 s0, s0, 28
	s_add_i32 s0, s49, s0
	s_ashr_i32 s50, s0, 4
	s_ashr_i32 s43, s42, 31
	v_cmp_gt_i32_e32 vcc, s50, v0
	s_and_saveexec_b64 s[44:45], vcc
	s_cbranch_execz .LBB6_33
; %bb.31:
	s_add_u32 s0, s42, s38
	s_addc_u32 s1, s43, s39
	s_add_u32 s0, s40, s0
	v_lshlrev_b32_e32 v1, 4, v0
	s_addc_u32 s1, s41, s1
	v_mov_b32_e32 v2, s1
	v_add_co_u32_e32 v1, vcc, s0, v1
	s_lshl_b32 s51, s33, 4
	s_lshl_b64 s[0:1], s[42:43], 2
	s_add_u32 s0, s34, s0
	v_addc_co_u32_e32 v2, vcc, 0, v2, vcc
	s_addc_u32 s1, s35, s1
	v_add_co_u32_e32 v1, vcc, 7, v1
	s_add_u32 s0, s0, s36
	v_addc_co_u32_e32 v2, vcc, 0, v2, vcc
	v_lshlrev_b32_e32 v3, 6, v0
	s_addc_u32 s1, s1, s37
	v_mov_b32_e32 v4, s1
	v_add_co_u32_e32 v3, vcc, s0, v3
	v_addc_co_u32_e32 v4, vcc, 0, v4, vcc
	s_lshl_b32 s52, s33, 6
	s_mov_b64 s[46:47], 0
	s_mov_b32 s53, 0x42fe0000
	v_mov_b32_e32 v5, 0x42fe0000
	s_mov_b32 s54, 0xc3000000
	v_mov_b32_e32 v7, 0xc3000000
	v_mov_b32_e32 v8, v0
.LBB6_32:                               ; =>This Inner Loop Header: Depth=1
	global_load_dwordx4 v[9:12], v[3:4], off
	global_load_dwordx4 v[13:16], v[3:4], off offset:16
	global_load_dwordx4 v[17:20], v[3:4], off offset:32
	v_add_u32_e32 v8, s33, v8
	s_waitcnt vmcnt(2)
	v_mul_f32_e32 v21, v6, v9
	v_mul_f32_e32 v22, v6, v10
	;; [unrolled: 1-line block ×4, first 2 shown]
	global_load_dwordx4 v[9:12], v[3:4], off offset:48
	v_rndne_f32_e32 v21, v21
	v_cmp_nlt_f32_e32 vcc, s53, v21
	v_cndmask_b32_e32 v25, v5, v21, vcc
	v_cmp_ngt_f32_e32 vcc, s54, v21
	v_rndne_f32_e32 v21, v22
	v_cmp_nlt_f32_e64 s[0:1], s53, v21
	v_cndmask_b32_e64 v22, v5, v21, s[0:1]
	v_cmp_ngt_f32_e64 s[0:1], s54, v21
	v_rndne_f32_e32 v21, v23
	s_waitcnt vmcnt(2)
	v_mul_f32_e32 v13, v6, v13
	v_cmp_nlt_f32_e64 s[2:3], s53, v21
	v_cndmask_b32_e64 v23, v5, v21, s[2:3]
	v_cmp_ngt_f32_e64 s[2:3], s54, v21
	v_rndne_f32_e32 v21, v24
	v_rndne_f32_e32 v13, v13
	v_mul_f32_e32 v14, v6, v14
	v_cmp_nlt_f32_e64 s[4:5], s53, v21
	v_cmp_nlt_f32_e64 s[6:7], s53, v13
	v_cndmask_b32_e64 v24, v5, v21, s[4:5]
	v_cmp_ngt_f32_e64 s[4:5], s54, v21
	v_cndmask_b32_e64 v21, v5, v13, s[6:7]
	v_cmp_ngt_f32_e64 s[6:7], s54, v13
	v_rndne_f32_e32 v13, v14
	v_mul_f32_e32 v15, v6, v15
	v_cmp_nlt_f32_e64 s[8:9], s53, v13
	v_cndmask_b32_e64 v14, v5, v13, s[8:9]
	v_cmp_ngt_f32_e64 s[8:9], s54, v13
	v_rndne_f32_e32 v13, v15
	v_mul_f32_e32 v16, v6, v16
	v_cmp_nlt_f32_e64 s[10:11], s53, v13
	v_cndmask_b32_e64 v15, v5, v13, s[10:11]
	v_cmp_ngt_f32_e64 s[10:11], s54, v13
	v_rndne_f32_e32 v13, v16
	s_waitcnt vmcnt(1)
	v_mul_f32_e32 v17, v6, v17
	v_cmp_nlt_f32_e64 s[12:13], s53, v13
	v_cndmask_b32_e64 v16, v5, v13, s[12:13]
	v_cmp_ngt_f32_e64 s[12:13], s54, v13
	v_rndne_f32_e32 v13, v17
	v_mul_f32_e32 v18, v6, v18
	v_cmp_nlt_f32_e64 s[14:15], s53, v13
	v_cndmask_b32_e64 v17, v5, v13, s[14:15]
	v_cmp_ngt_f32_e64 s[14:15], s54, v13
	v_rndne_f32_e32 v13, v18
	;; [unrolled: 5-line block ×4, first 2 shown]
	v_cmp_nlt_f32_e64 s[20:21], s53, v13
	v_cndmask_b32_e64 v20, v5, v13, s[20:21]
	v_cmp_ngt_f32_e64 s[20:21], s54, v13
	v_cndmask_b32_e64 v22, v7, v22, s[0:1]
	v_cndmask_b32_e64 v23, v7, v23, s[2:3]
	;; [unrolled: 1-line block ×11, first 2 shown]
	v_cvt_i32_f32_sdwa v22, v22 dst_sel:BYTE_1 dst_unused:UNUSED_PAD src0_sel:DWORD
	v_cvt_i32_f32_e32 v23, v23
	v_cvt_i32_f32_sdwa v24, v24 dst_sel:BYTE_1 dst_unused:UNUSED_PAD src0_sel:DWORD
	v_cvt_i32_f32_e32 v21, v21
	;; [unrolled: 2-line block ×5, first 2 shown]
	v_cvt_i32_f32_sdwa v20, v20 dst_sel:BYTE_1 dst_unused:UNUSED_PAD src0_sel:DWORD
	v_add_co_u32_e64 v3, s[30:31], s52, v3
	s_waitcnt vmcnt(0)
	v_mul_f32_e32 v9, v6, v9
	v_rndne_f32_e32 v9, v9
	v_mul_f32_e32 v10, v6, v10
	v_cmp_nlt_f32_e64 s[22:23], s53, v9
	v_cndmask_b32_e64 v13, v5, v9, s[22:23]
	v_cmp_ngt_f32_e64 s[22:23], s54, v9
	v_rndne_f32_e32 v9, v10
	v_mul_f32_e32 v11, v6, v11
	v_cmp_nlt_f32_e64 s[24:25], s53, v9
	v_cndmask_b32_e64 v10, v5, v9, s[24:25]
	v_cmp_ngt_f32_e64 s[24:25], s54, v9
	;; [unrolled: 5-line block ×3, first 2 shown]
	v_rndne_f32_e32 v9, v12
	v_cmp_nlt_f32_e64 s[28:29], s53, v9
	v_cndmask_b32_e64 v12, v5, v9, s[28:29]
	v_cmp_ngt_f32_e64 s[28:29], s54, v9
	v_cndmask_b32_e32 v9, v7, v25, vcc
	v_cndmask_b32_e64 v13, v7, v13, s[22:23]
	v_cndmask_b32_e64 v10, v7, v10, s[24:25]
	;; [unrolled: 1-line block ×4, first 2 shown]
	v_cvt_i32_f32_e32 v9, v9
	v_cvt_i32_f32_e32 v13, v13
	v_cvt_i32_f32_sdwa v10, v10 dst_sel:BYTE_1 dst_unused:UNUSED_PAD src0_sel:DWORD
	v_cvt_i32_f32_e32 v11, v11
	v_cvt_i32_f32_sdwa v12, v12 dst_sel:BYTE_1 dst_unused:UNUSED_PAD src0_sel:DWORD
	v_or_b32_sdwa v14, v21, v14 dst_sel:DWORD dst_unused:UNUSED_PAD src0_sel:BYTE_0 src1_sel:DWORD
	v_or_b32_sdwa v10, v13, v10 dst_sel:DWORD dst_unused:UNUSED_PAD src0_sel:BYTE_0 src1_sel:DWORD
	;; [unrolled: 1-line block ×3, first 2 shown]
	v_or_b32_sdwa v11, v11, v12 dst_sel:WORD_1 dst_unused:UNUSED_PAD src0_sel:BYTE_0 src1_sel:DWORD
	v_or_b32_sdwa v17, v19, v20 dst_sel:WORD_1 dst_unused:UNUSED_PAD src0_sel:BYTE_0 src1_sel:DWORD
	;; [unrolled: 1-line block ×3, first 2 shown]
	v_or_b32_sdwa v9, v9, v22 dst_sel:DWORD dst_unused:UNUSED_PAD src0_sel:BYTE_0 src1_sel:DWORD
	v_or_b32_sdwa v16, v23, v24 dst_sel:WORD_1 dst_unused:UNUSED_PAD src0_sel:BYTE_0 src1_sel:DWORD
	v_addc_co_u32_e64 v4, s[30:31], 0, v4, s[30:31]
	v_or_b32_sdwa v12, v10, v11 dst_sel:DWORD dst_unused:UNUSED_PAD src0_sel:WORD_0 src1_sel:DWORD
	v_or_b32_sdwa v11, v13, v17 dst_sel:DWORD dst_unused:UNUSED_PAD src0_sel:WORD_0 src1_sel:DWORD
	;; [unrolled: 1-line block ×4, first 2 shown]
	v_cmp_le_i32_e64 s[30:31], s50, v8
	global_store_dwordx4 v[1:2], v[9:12], off offset:-7
	v_add_co_u32_e32 v1, vcc, s51, v1
	s_or_b64 s[46:47], s[30:31], s[46:47]
	v_addc_co_u32_e32 v2, vcc, 0, v2, vcc
	s_andn2_b64 exec, exec, s[46:47]
	s_cbranch_execnz .LBB6_32
.LBB6_33:
	s_or_b64 exec, exec, s[44:45]
	v_lshl_add_u32 v1, s50, 4, v0
	v_cmp_gt_i32_e32 vcc, s49, v1
	s_and_saveexec_b64 s[2:3], vcc
	s_cbranch_execz .LBB6_36
; %bb.34:
	s_lshl_b64 s[0:1], s[42:43], 2
	s_add_u32 s0, s36, s0
	s_addc_u32 s1, s37, s1
	v_ashrrev_i32_e32 v2, 31, v1
	v_lshlrev_b64 v[3:4], 2, v[1:2]
	s_add_u32 s0, s34, s0
	s_addc_u32 s1, s35, s1
	s_lshl_b32 s8, s33, 2
	v_add_co_u32_e32 v3, vcc, s0, v3
	s_add_u32 s0, s42, s38
	v_mov_b32_e32 v5, s1
	s_addc_u32 s1, s43, s39
	s_add_u32 s0, s40, s0
	v_addc_co_u32_e32 v4, vcc, v5, v4, vcc
	s_addc_u32 s1, s41, s1
	v_mov_b32_e32 v7, s1
	v_add_co_u32_e32 v5, vcc, s0, v1
	v_addc_co_u32_e32 v2, vcc, v7, v2, vcc
	s_mov_b64 s[4:5], 0
	s_mov_b32 s9, 0x42fe0000
	v_mov_b32_e32 v7, 0x42fe0000
	s_mov_b32 s10, 0xc3000000
	v_mov_b32_e32 v8, 0xc3000000
	s_mov_b64 s[6:7], 0
.LBB6_35:                               ; =>This Inner Loop Header: Depth=1
	global_load_dword v11, v[3:4], off
	v_mov_b32_e32 v10, s7
	v_add_co_u32_e32 v9, vcc, s6, v5
	v_addc_co_u32_e32 v10, vcc, v2, v10, vcc
	s_add_u32 s6, s6, s33
	v_add_co_u32_e64 v3, s[0:1], s8, v3
	s_addc_u32 s7, s7, 0
	v_addc_co_u32_e64 v4, s[0:1], 0, v4, s[0:1]
	s_waitcnt vmcnt(0)
	v_mul_f32_e32 v11, v6, v11
	v_rndne_f32_e32 v11, v11
	v_cmp_nlt_f32_e32 vcc, s9, v11
	v_cndmask_b32_e32 v12, v7, v11, vcc
	v_cmp_ngt_f32_e32 vcc, s10, v11
	v_cndmask_b32_e32 v11, v8, v12, vcc
	v_cvt_i32_f32_e32 v11, v11
	v_add_u32_e32 v12, s6, v1
	v_cmp_le_i32_e32 vcc, s49, v12
	s_or_b64 s[4:5], vcc, s[4:5]
	global_store_byte v[9:10], v11, off
	s_andn2_b64 exec, exec, s[4:5]
	s_cbranch_execnz .LBB6_35
.LBB6_36:
	s_or_b64 exec, exec, s[2:3]
	s_mov_b64 s[2:3], 0
.LBB6_37:
	s_and_b64 vcc, exec, s[2:3]
	s_cbranch_vccz .LBB6_41
; %bb.38:
	s_ashr_i32 s42, s48, 4
	v_cmp_gt_i32_e32 vcc, s42, v0
	s_and_saveexec_b64 s[0:1], vcc
	s_cbranch_execz .LBB6_41
; %bb.39:
	s_add_u32 s0, s40, s38
	v_lshlrev_b32_e32 v1, 4, v0
	s_addc_u32 s1, s41, s39
	v_mov_b32_e32 v2, s1
	v_add_co_u32_e32 v1, vcc, s0, v1
	v_addc_co_u32_e32 v2, vcc, 0, v2, vcc
	s_lshl_b32 s38, s33, 4
	v_add_co_u32_e32 v1, vcc, 7, v1
	s_add_u32 s0, s34, s36
	v_addc_co_u32_e32 v2, vcc, 0, v2, vcc
	v_lshlrev_b32_e32 v3, 6, v0
	s_addc_u32 s1, s35, s37
	v_mov_b32_e32 v4, s1
	v_add_co_u32_e32 v3, vcc, s0, v3
	v_addc_co_u32_e32 v4, vcc, 0, v4, vcc
	s_lshl_b32 s34, s33, 6
	s_mov_b64 s[30:31], 0
	s_mov_b32 s35, 0x42fe0000
	v_mov_b32_e32 v5, 0x42fe0000
	s_mov_b32 s36, 0xc3000000
	v_mov_b32_e32 v7, 0xc3000000
.LBB6_40:                               ; =>This Inner Loop Header: Depth=1
	global_load_dwordx4 v[11:14], v[3:4], off
	global_load_dwordx4 v[16:19], v[3:4], off offset:16
	global_load_dwordx4 v[21:24], v[3:4], off offset:32
	v_add_u32_e32 v0, s33, v0
	s_waitcnt vmcnt(2)
	v_mul_f32_e32 v10, v6, v12
	v_mul_f32_e32 v8, v6, v14
	s_waitcnt vmcnt(1)
	v_mul_f32_e32 v15, v6, v17
	v_mul_f32_e32 v14, v6, v18
	;; [unrolled: 1-line block ×3, first 2 shown]
	global_load_dwordx4 v[17:20], v[3:4], off offset:48
	v_mul_f32_e32 v9, v6, v13
	s_waitcnt vmcnt(1)
	v_mul_f32_e32 v25, v6, v21
	v_mul_f32_e32 v21, v6, v22
	;; [unrolled: 1-line block ×3, first 2 shown]
	v_rndne_f32_e32 v24, v25
	v_cmp_nlt_f32_e64 s[4:5], s35, v24
	v_mul_f32_e32 v23, v6, v23
	v_mul_f32_e32 v11, v6, v11
	;; [unrolled: 1-line block ×3, first 2 shown]
	v_rndne_f32_e32 v16, v16
	v_rndne_f32_e32 v15, v15
	;; [unrolled: 1-line block ×8, first 2 shown]
	v_cmp_nlt_f32_e64 s[12:13], s35, v16
	v_cmp_nlt_f32_e64 s[14:15], s35, v15
	;; [unrolled: 1-line block ×8, first 2 shown]
	s_waitcnt vmcnt(0)
	v_mul_f32_e32 v13, v6, v17
	v_mul_f32_e32 v17, v6, v18
	;; [unrolled: 1-line block ×4, first 2 shown]
	v_rndne_f32_e32 v20, v17
	v_cmp_nlt_f32_e32 vcc, s35, v20
	v_cndmask_b32_e32 v17, v5, v20, vcc
	v_cmp_ngt_f32_e32 vcc, s36, v20
	v_rndne_f32_e32 v20, v18
	v_cmp_nlt_f32_e64 s[0:1], s35, v20
	v_cndmask_b32_e64 v18, v5, v20, s[0:1]
	v_cmp_ngt_f32_e64 s[0:1], s36, v20
	v_rndne_f32_e32 v20, v19
	v_cmp_nlt_f32_e64 s[2:3], s35, v20
	v_cndmask_b32_e64 v19, v5, v20, s[2:3]
	v_cmp_ngt_f32_e64 s[2:3], s36, v20
	v_cndmask_b32_e64 v20, v5, v24, s[4:5]
	v_cmp_ngt_f32_e64 s[4:5], s36, v24
	v_rndne_f32_e32 v24, v21
	v_cmp_nlt_f32_e64 s[6:7], s35, v24
	v_cndmask_b32_e64 v21, v5, v24, s[6:7]
	v_cmp_ngt_f32_e64 s[6:7], s36, v24
	v_rndne_f32_e32 v24, v23
	v_cmp_nlt_f32_e64 s[8:9], s35, v24
	;; [unrolled: 4-line block ×3, first 2 shown]
	v_cndmask_b32_e64 v22, v5, v24, s[10:11]
	v_cmp_ngt_f32_e64 s[10:11], s36, v24
	v_cndmask_b32_e64 v24, v5, v16, s[12:13]
	v_cmp_ngt_f32_e64 s[12:13], s36, v16
	v_cndmask_b32_e64 v16, v5, v15, s[14:15]
	v_cmp_ngt_f32_e64 s[14:15], s36, v15
	v_cndmask_b32_e64 v15, v5, v14, s[16:17]
	v_cmp_ngt_f32_e64 s[16:17], s36, v14
	v_cndmask_b32_e64 v14, v5, v12, s[18:19]
	v_cmp_ngt_f32_e64 s[18:19], s36, v12
	v_cndmask_b32_e64 v12, v5, v11, s[20:21]
	v_cmp_ngt_f32_e64 s[20:21], s36, v11
	v_cndmask_b32_e64 v11, v5, v10, s[22:23]
	v_cmp_ngt_f32_e64 s[22:23], s36, v10
	v_cndmask_b32_e64 v10, v5, v9, s[24:25]
	v_cmp_ngt_f32_e64 s[24:25], s36, v9
	v_cndmask_b32_e64 v9, v5, v8, s[26:27]
	v_cmp_ngt_f32_e64 s[26:27], s36, v8
	v_rndne_f32_e32 v8, v13
	v_cmp_nlt_f32_e64 s[28:29], s35, v8
	v_cndmask_b32_e64 v13, v5, v8, s[28:29]
	v_cmp_ngt_f32_e64 s[28:29], s36, v8
	v_cndmask_b32_e64 v8, v7, v13, s[28:29]
	v_cndmask_b32_e32 v13, v7, v17, vcc
	v_cvt_i32_f32_e32 v8, v8
	v_cvt_i32_f32_sdwa v13, v13 dst_sel:BYTE_1 dst_unused:UNUSED_PAD src0_sel:DWORD
	v_cndmask_b32_e64 v17, v7, v19, s[2:3]
	v_cndmask_b32_e64 v19, v7, v21, s[6:7]
	;; [unrolled: 1-line block ×3, first 2 shown]
	v_or_b32_sdwa v8, v8, v13 dst_sel:DWORD dst_unused:UNUSED_PAD src0_sel:BYTE_0 src1_sel:DWORD
	v_cndmask_b32_e64 v13, v7, v18, s[0:1]
	v_cndmask_b32_e64 v18, v7, v20, s[4:5]
	;; [unrolled: 1-line block ×11, first 2 shown]
	v_cvt_i32_f32_e32 v13, v13
	v_cvt_i32_f32_sdwa v17, v17 dst_sel:BYTE_1 dst_unused:UNUSED_PAD src0_sel:DWORD
	v_cvt_i32_f32_e32 v18, v18
	v_cvt_i32_f32_sdwa v19, v19 dst_sel:BYTE_1 dst_unused:UNUSED_PAD src0_sel:DWORD
	;; [unrolled: 2-line block ×7, first 2 shown]
	v_add_co_u32_e32 v3, vcc, s34, v3
	v_addc_co_u32_e32 v4, vcc, 0, v4, vcc
	v_or_b32_sdwa v13, v13, v17 dst_sel:WORD_1 dst_unused:UNUSED_PAD src0_sel:BYTE_0 src1_sel:DWORD
	v_or_b32_sdwa v17, v18, v19 dst_sel:DWORD dst_unused:UNUSED_PAD src0_sel:BYTE_0 src1_sel:DWORD
	v_or_b32_sdwa v18, v20, v21 dst_sel:WORD_1 dst_unused:UNUSED_PAD src0_sel:BYTE_0 src1_sel:DWORD
	v_or_b32_sdwa v16, v22, v16 dst_sel:DWORD dst_unused:UNUSED_PAD src0_sel:BYTE_0 src1_sel:DWORD
	;; [unrolled: 2-line block ×3, first 2 shown]
	v_or_b32_sdwa v15, v10, v9 dst_sel:WORD_1 dst_unused:UNUSED_PAD src0_sel:BYTE_0 src1_sel:DWORD
	v_cmp_le_i32_e32 vcc, s42, v0
	v_or_b32_sdwa v11, v8, v13 dst_sel:DWORD dst_unused:UNUSED_PAD src0_sel:WORD_0 src1_sel:DWORD
	v_or_b32_sdwa v10, v17, v18 dst_sel:DWORD dst_unused:UNUSED_PAD src0_sel:WORD_0 src1_sel:DWORD
	;; [unrolled: 1-line block ×4, first 2 shown]
	s_or_b64 s[30:31], vcc, s[30:31]
	global_store_dwordx4 v[1:2], v[8:11], off offset:-7
	v_add_co_u32_e32 v1, vcc, s38, v1
	v_addc_co_u32_e32 v2, vcc, 0, v2, vcc
	s_andn2_b64 exec, exec, s[30:31]
	s_cbranch_execnz .LBB6_40
.LBB6_41:
	s_endpgm
	.section	.rodata,"a",@progbits
	.p2align	6, 0x0
	.amdhsa_kernel _ZN4vllm32dynamic_scaled_int8_quant_kernelIffEEvPKT_PaPT0_i
		.amdhsa_group_segment_fixed_size 20
		.amdhsa_private_segment_fixed_size 0
		.amdhsa_kernarg_size 288
		.amdhsa_user_sgpr_count 6
		.amdhsa_user_sgpr_private_segment_buffer 1
		.amdhsa_user_sgpr_dispatch_ptr 0
		.amdhsa_user_sgpr_queue_ptr 0
		.amdhsa_user_sgpr_kernarg_segment_ptr 1
		.amdhsa_user_sgpr_dispatch_id 0
		.amdhsa_user_sgpr_flat_scratch_init 0
		.amdhsa_user_sgpr_private_segment_size 0
		.amdhsa_uses_dynamic_stack 0
		.amdhsa_system_sgpr_private_segment_wavefront_offset 0
		.amdhsa_system_sgpr_workgroup_id_x 1
		.amdhsa_system_sgpr_workgroup_id_y 0
		.amdhsa_system_sgpr_workgroup_id_z 0
		.amdhsa_system_sgpr_workgroup_info 0
		.amdhsa_system_vgpr_workitem_id 0
		.amdhsa_next_free_vgpr 26
		.amdhsa_next_free_sgpr 55
		.amdhsa_reserve_vcc 1
		.amdhsa_reserve_flat_scratch 0
		.amdhsa_float_round_mode_32 0
		.amdhsa_float_round_mode_16_64 0
		.amdhsa_float_denorm_mode_32 3
		.amdhsa_float_denorm_mode_16_64 3
		.amdhsa_dx10_clamp 1
		.amdhsa_ieee_mode 1
		.amdhsa_fp16_overflow 0
		.amdhsa_exception_fp_ieee_invalid_op 0
		.amdhsa_exception_fp_denorm_src 0
		.amdhsa_exception_fp_ieee_div_zero 0
		.amdhsa_exception_fp_ieee_overflow 0
		.amdhsa_exception_fp_ieee_underflow 0
		.amdhsa_exception_fp_ieee_inexact 0
		.amdhsa_exception_int_div_zero 0
	.end_amdhsa_kernel
	.section	.text._ZN4vllm32dynamic_scaled_int8_quant_kernelIffEEvPKT_PaPT0_i,"axG",@progbits,_ZN4vllm32dynamic_scaled_int8_quant_kernelIffEEvPKT_PaPT0_i,comdat
.Lfunc_end6:
	.size	_ZN4vllm32dynamic_scaled_int8_quant_kernelIffEEvPKT_PaPT0_i, .Lfunc_end6-_ZN4vllm32dynamic_scaled_int8_quant_kernelIffEEvPKT_PaPT0_i
                                        ; -- End function
	.set _ZN4vllm32dynamic_scaled_int8_quant_kernelIffEEvPKT_PaPT0_i.num_vgpr, 26
	.set _ZN4vllm32dynamic_scaled_int8_quant_kernelIffEEvPKT_PaPT0_i.num_agpr, 0
	.set _ZN4vllm32dynamic_scaled_int8_quant_kernelIffEEvPKT_PaPT0_i.numbered_sgpr, 55
	.set _ZN4vllm32dynamic_scaled_int8_quant_kernelIffEEvPKT_PaPT0_i.num_named_barrier, 0
	.set _ZN4vllm32dynamic_scaled_int8_quant_kernelIffEEvPKT_PaPT0_i.private_seg_size, 0
	.set _ZN4vllm32dynamic_scaled_int8_quant_kernelIffEEvPKT_PaPT0_i.uses_vcc, 1
	.set _ZN4vllm32dynamic_scaled_int8_quant_kernelIffEEvPKT_PaPT0_i.uses_flat_scratch, 0
	.set _ZN4vllm32dynamic_scaled_int8_quant_kernelIffEEvPKT_PaPT0_i.has_dyn_sized_stack, 0
	.set _ZN4vllm32dynamic_scaled_int8_quant_kernelIffEEvPKT_PaPT0_i.has_recursion, 0
	.set _ZN4vllm32dynamic_scaled_int8_quant_kernelIffEEvPKT_PaPT0_i.has_indirect_call, 0
	.section	.AMDGPU.csdata,"",@progbits
; Kernel info:
; codeLenInByte = 4300
; TotalNumSgprs: 59
; NumVgprs: 26
; ScratchSize: 0
; MemoryBound: 0
; FloatMode: 240
; IeeeMode: 1
; LDSByteSize: 20 bytes/workgroup (compile time only)
; SGPRBlocks: 7
; VGPRBlocks: 6
; NumSGPRsForWavesPerEU: 59
; NumVGPRsForWavesPerEU: 26
; Occupancy: 9
; WaveLimiterHint : 0
; COMPUTE_PGM_RSRC2:SCRATCH_EN: 0
; COMPUTE_PGM_RSRC2:USER_SGPR: 6
; COMPUTE_PGM_RSRC2:TRAP_HANDLER: 0
; COMPUTE_PGM_RSRC2:TGID_X_EN: 1
; COMPUTE_PGM_RSRC2:TGID_Y_EN: 0
; COMPUTE_PGM_RSRC2:TGID_Z_EN: 0
; COMPUTE_PGM_RSRC2:TIDIG_COMP_CNT: 0
	.section	.text._ZN4vllm36dynamic_scaled_int8_azp_quant_kernelIffiEEvPKT_PaPT0_PT1_i,"axG",@progbits,_ZN4vllm36dynamic_scaled_int8_azp_quant_kernelIffiEEvPKT_PaPT0_PT1_i,comdat
	.protected	_ZN4vllm36dynamic_scaled_int8_azp_quant_kernelIffiEEvPKT_PaPT0_PT1_i ; -- Begin function _ZN4vllm36dynamic_scaled_int8_azp_quant_kernelIffiEEvPKT_PaPT0_PT1_i
	.globl	_ZN4vllm36dynamic_scaled_int8_azp_quant_kernelIffiEEvPKT_PaPT0_PT1_i
	.p2align	8
	.type	_ZN4vllm36dynamic_scaled_int8_azp_quant_kernelIffiEEvPKT_PaPT0_PT1_i,@function
_ZN4vllm36dynamic_scaled_int8_azp_quant_kernelIffiEEvPKT_PaPT0_PT1_i: ; @_ZN4vllm36dynamic_scaled_int8_azp_quant_kernelIffiEEvPKT_PaPT0_PT1_i
; %bb.0:
	s_load_dword s19, s[4:5], 0x20
	s_load_dword s2, s[4:5], 0x34
	s_load_dwordx2 s[0:1], s[4:5], 0x0
	s_mov_b32 s7, 0
	s_mov_b32 s11, s7
	s_waitcnt lgkmcnt(0)
	s_ashr_i32 s3, s19, 31
	s_and_b32 s18, s2, 0xffff
	s_mul_hi_u32 s2, s19, s6
	s_mul_i32 s3, s3, s6
	s_add_i32 s9, s2, s3
	s_mul_i32 s8, s19, s6
	s_lshl_b64 s[2:3], s[8:9], 2
	s_add_u32 s20, s0, s2
	s_and_b32 s10, s20, 63
	s_cmp_lg_u64 s[10:11], 0
	s_cselect_b64 s[10:11], -1, 0
	s_and_b32 s12, s19, 15
	s_cmp_lg_u32 s12, 0
	s_cselect_b64 s[12:13], -1, 0
	s_or_b64 s[12:13], s[12:13], s[10:11]
	s_and_b64 vcc, exec, s[12:13]
	s_cbranch_vccz .LBB7_14
; %bb.1:
	s_sub_i32 s10, 0, s20
	s_bfe_u32 s10, s10, 0x40002
	s_min_i32 s10, s10, s19
	v_cmp_gt_i32_e32 vcc, s10, v0
	v_mov_b32_e32 v2, 0xff7fffff
	v_mov_b32_e32 v1, 0x7f7fffff
	s_and_saveexec_b64 s[14:15], vcc
	s_cbranch_execz .LBB7_5
; %bb.2:
	s_add_u32 s11, s0, s2
	v_lshlrev_b32_e32 v1, 2, v0
	s_addc_u32 s16, s1, s3
	v_mov_b32_e32 v2, s16
	v_add_co_u32_e32 v3, vcc, s11, v1
	v_addc_co_u32_e32 v4, vcc, 0, v2, vcc
	s_lshl_b32 s11, s18, 2
	v_mov_b32_e32 v1, 0x7f7fffff
	v_mov_b32_e32 v2, 0xff7fffff
	s_mov_b64 s[16:17], 0
	v_mov_b32_e32 v5, v0
.LBB7_3:                                ; =>This Inner Loop Header: Depth=1
	global_load_dword v6, v[3:4], off
	v_add_co_u32_e32 v3, vcc, s11, v3
	v_add_u32_e32 v5, s18, v5
	v_addc_co_u32_e32 v4, vcc, 0, v4, vcc
	v_max_f32_e32 v1, v1, v1
	v_max_f32_e32 v2, v2, v2
	v_cmp_le_i32_e32 vcc, s10, v5
	s_or_b64 s[16:17], vcc, s[16:17]
	s_waitcnt vmcnt(0)
	v_max_f32_e32 v6, v6, v6
	v_min_f32_e32 v1, v1, v6
	v_max_f32_e32 v2, v2, v6
	s_andn2_b64 exec, exec, s[16:17]
	s_cbranch_execnz .LBB7_3
; %bb.4:
	s_or_b64 exec, exec, s[16:17]
.LBB7_5:
	s_or_b64 exec, exec, s[14:15]
	s_sub_i32 s21, s19, s10
	s_ashr_i32 s14, s21, 31
	s_lshr_b32 s14, s14, 28
	s_add_i32 s14, s21, s14
	s_ashr_i32 s22, s14, 4
	s_ashr_i32 s11, s10, 31
	v_cmp_gt_i32_e32 vcc, s22, v0
	s_and_saveexec_b64 s[14:15], vcc
	s_cbranch_execz .LBB7_9
; %bb.6:
	s_lshl_b64 s[16:17], s[10:11], 2
	s_add_u32 s16, s0, s16
	s_addc_u32 s17, s1, s17
	s_add_u32 s16, s16, s2
	v_lshlrev_b32_e32 v3, 6, v0
	s_addc_u32 s17, s17, s3
	v_mov_b32_e32 v4, s17
	v_add_co_u32_e32 v3, vcc, s16, v3
	v_addc_co_u32_e32 v4, vcc, 0, v4, vcc
	s_lshl_b32 s23, s18, 6
	s_mov_b64 s[16:17], 0
	v_mov_b32_e32 v5, v0
.LBB7_7:                                ; =>This Inner Loop Header: Depth=1
	global_load_dwordx4 v[6:9], v[3:4], off
	global_load_dwordx4 v[10:13], v[3:4], off offset:16
	global_load_dwordx4 v[14:17], v[3:4], off offset:32
	;; [unrolled: 1-line block ×3, first 2 shown]
	v_add_co_u32_e32 v3, vcc, s23, v3
	v_add_u32_e32 v5, s18, v5
	v_addc_co_u32_e32 v4, vcc, 0, v4, vcc
	v_cmp_le_i32_e32 vcc, s22, v5
	s_or_b64 s[16:17], vcc, s[16:17]
	s_waitcnt vmcnt(3)
	v_min3_f32 v1, v1, v6, v7
	v_max3_f32 v2, v2, v6, v7
	v_min3_f32 v1, v1, v8, v9
	v_max3_f32 v2, v2, v8, v9
	s_waitcnt vmcnt(2)
	v_min3_f32 v1, v1, v10, v11
	v_max3_f32 v2, v2, v10, v11
	v_min3_f32 v1, v1, v12, v13
	v_max3_f32 v2, v2, v12, v13
	;; [unrolled: 5-line block ×4, first 2 shown]
	s_andn2_b64 exec, exec, s[16:17]
	s_cbranch_execnz .LBB7_7
; %bb.8:
	s_or_b64 exec, exec, s[16:17]
.LBB7_9:
	s_or_b64 exec, exec, s[14:15]
	v_lshl_add_u32 v3, s22, 4, v0
	v_cmp_gt_i32_e32 vcc, s21, v3
	s_and_saveexec_b64 s[14:15], vcc
	s_cbranch_execz .LBB7_13
; %bb.10:
	s_lshl_b64 s[10:11], s[10:11], 2
	s_add_u32 s10, s2, s10
	s_addc_u32 s11, s3, s11
	v_ashrrev_i32_e32 v4, 31, v3
	v_lshlrev_b64 v[4:5], 2, v[3:4]
	s_add_u32 s10, s0, s10
	s_addc_u32 s11, s1, s11
	v_mov_b32_e32 v6, s11
	v_add_co_u32_e32 v4, vcc, s10, v4
	v_addc_co_u32_e32 v5, vcc, v6, v5, vcc
	s_lshl_b32 s16, s18, 2
	s_mov_b64 s[10:11], 0
.LBB7_11:                               ; =>This Inner Loop Header: Depth=1
	global_load_dword v6, v[4:5], off
	v_add_co_u32_e32 v4, vcc, s16, v4
	v_add_u32_e32 v3, s18, v3
	v_addc_co_u32_e32 v5, vcc, 0, v5, vcc
	v_max_f32_e32 v1, v1, v1
	v_max_f32_e32 v2, v2, v2
	v_cmp_le_i32_e32 vcc, s21, v3
	s_or_b64 s[10:11], vcc, s[10:11]
	s_waitcnt vmcnt(0)
	v_max_f32_e32 v6, v6, v6
	v_min_f32_e32 v1, v1, v6
	v_max_f32_e32 v2, v2, v6
	s_andn2_b64 exec, exec, s[10:11]
	s_cbranch_execnz .LBB7_11
; %bb.12:
	s_or_b64 exec, exec, s[10:11]
.LBB7_13:
	s_or_b64 exec, exec, s[14:15]
	s_branch .LBB7_20
.LBB7_14:
                                        ; implicit-def: $vgpr1
	s_cbranch_execz .LBB7_20
; %bb.15:
	s_ashr_i32 s16, s19, 4
	v_cmp_gt_i32_e32 vcc, s16, v0
	v_mov_b32_e32 v2, 0xff7fffff
	v_mov_b32_e32 v1, 0x7f7fffff
	s_and_saveexec_b64 s[10:11], vcc
	s_cbranch_execz .LBB7_19
; %bb.16:
	s_add_u32 s14, s0, s2
	v_lshlrev_b32_e32 v1, 6, v0
	s_addc_u32 s15, s1, s3
	v_mov_b32_e32 v2, s15
	v_add_co_u32_e32 v3, vcc, s14, v1
	v_addc_co_u32_e32 v4, vcc, 0, v2, vcc
	s_lshl_b32 s17, s18, 6
	v_mov_b32_e32 v1, 0x7f7fffff
	v_mov_b32_e32 v2, 0xff7fffff
	s_mov_b64 s[14:15], 0
	v_mov_b32_e32 v5, v0
.LBB7_17:                               ; =>This Inner Loop Header: Depth=1
	global_load_dwordx4 v[6:9], v[3:4], off
	global_load_dwordx4 v[10:13], v[3:4], off offset:16
	global_load_dwordx4 v[14:17], v[3:4], off offset:32
	;; [unrolled: 1-line block ×3, first 2 shown]
	v_add_co_u32_e32 v3, vcc, s17, v3
	v_add_u32_e32 v5, s18, v5
	v_addc_co_u32_e32 v4, vcc, 0, v4, vcc
	v_cmp_le_i32_e32 vcc, s16, v5
	s_or_b64 s[14:15], vcc, s[14:15]
	s_waitcnt vmcnt(3)
	v_min3_f32 v1, v1, v6, v7
	v_max3_f32 v2, v2, v6, v7
	v_min3_f32 v1, v1, v8, v9
	v_max3_f32 v2, v2, v8, v9
	s_waitcnt vmcnt(2)
	v_min3_f32 v1, v1, v10, v11
	v_max3_f32 v2, v2, v10, v11
	v_min3_f32 v1, v1, v12, v13
	v_max3_f32 v2, v2, v12, v13
	;; [unrolled: 5-line block ×4, first 2 shown]
	s_andn2_b64 exec, exec, s[14:15]
	s_cbranch_execnz .LBB7_17
; %bb.18:
	s_or_b64 exec, exec, s[14:15]
.LBB7_19:
	s_or_b64 exec, exec, s[10:11]
.LBB7_20:
	v_mbcnt_lo_u32_b32 v3, -1, 0
	v_mbcnt_hi_u32_b32 v3, -1, v3
	v_and_b32_e32 v5, 63, v3
	v_cmp_ne_u32_e32 vcc, 63, v5
	v_addc_co_u32_e32 v4, vcc, 0, v3, vcc
	v_lshlrev_b32_e32 v4, 2, v4
	ds_bpermute_b32 v7, v4, v1
	ds_bpermute_b32 v6, v4, v2
	v_and_b32_e32 v4, 0x3c0, v0
	v_sub_u32_e64 v4, s18, v4 clamp
	v_add_u32_e32 v8, 1, v3
	v_cmp_lt_u32_e32 vcc, v8, v4
	s_and_saveexec_b64 s[10:11], vcc
	s_cbranch_execz .LBB7_22
; %bb.21:
	s_waitcnt lgkmcnt(1)
	v_max_f32_e32 v7, v7, v7
	v_max_f32_e32 v1, v1, v1
	s_waitcnt lgkmcnt(0)
	v_max_f32_e32 v6, v6, v6
	v_max_f32_e32 v2, v2, v2
	v_min_f32_e32 v1, v1, v7
	v_max_f32_e32 v2, v2, v6
.LBB7_22:
	s_or_b64 exec, exec, s[10:11]
	v_cmp_gt_u32_e32 vcc, 62, v5
	s_waitcnt lgkmcnt(0)
	v_cndmask_b32_e64 v6, 0, 2, vcc
	v_add_lshl_u32 v6, v6, v3, 2
	ds_bpermute_b32 v7, v6, v1
	ds_bpermute_b32 v6, v6, v2
	v_add_u32_e32 v8, 2, v3
	v_cmp_lt_u32_e32 vcc, v8, v4
	s_and_saveexec_b64 s[10:11], vcc
	s_cbranch_execz .LBB7_24
; %bb.23:
	s_waitcnt lgkmcnt(1)
	v_max_f32_e32 v7, v7, v7
	v_max_f32_e32 v1, v1, v1
	s_waitcnt lgkmcnt(0)
	v_max_f32_e32 v6, v6, v6
	v_max_f32_e32 v2, v2, v2
	v_min_f32_e32 v1, v1, v7
	v_max_f32_e32 v2, v2, v6
.LBB7_24:
	s_or_b64 exec, exec, s[10:11]
	v_cmp_gt_u32_e32 vcc, 60, v5
	s_waitcnt lgkmcnt(0)
	v_cndmask_b32_e64 v6, 0, 4, vcc
	v_add_lshl_u32 v6, v6, v3, 2
	ds_bpermute_b32 v7, v6, v1
	ds_bpermute_b32 v6, v6, v2
	;; [unrolled: 21-line block ×3, first 2 shown]
	v_add_u32_e32 v8, 8, v3
	v_cmp_lt_u32_e32 vcc, v8, v4
	s_and_saveexec_b64 s[10:11], vcc
	s_cbranch_execz .LBB7_28
; %bb.27:
	s_waitcnt lgkmcnt(1)
	v_max_f32_e32 v7, v7, v7
	v_max_f32_e32 v1, v1, v1
	s_waitcnt lgkmcnt(0)
	v_max_f32_e32 v6, v6, v6
	v_max_f32_e32 v2, v2, v2
	v_min_f32_e32 v1, v1, v7
	v_max_f32_e32 v2, v2, v6
.LBB7_28:
	s_or_b64 exec, exec, s[10:11]
	v_cmp_gt_u32_e32 vcc, 48, v5
	v_cndmask_b32_e64 v5, 0, 16, vcc
	v_add_lshl_u32 v5, v5, v3, 2
	s_waitcnt lgkmcnt(0)
	ds_bpermute_b32 v6, v5, v1
	ds_bpermute_b32 v5, v5, v2
	v_add_u32_e32 v7, 16, v3
	v_cmp_lt_u32_e32 vcc, v7, v4
	s_and_saveexec_b64 s[10:11], vcc
	s_cbranch_execz .LBB7_30
; %bb.29:
	s_waitcnt lgkmcnt(1)
	v_max_f32_e32 v6, v6, v6
	v_max_f32_e32 v1, v1, v1
	s_waitcnt lgkmcnt(0)
	v_max_f32_e32 v5, v5, v5
	v_max_f32_e32 v2, v2, v2
	v_min_f32_e32 v1, v1, v6
	v_max_f32_e32 v2, v2, v5
.LBB7_30:
	s_or_b64 exec, exec, s[10:11]
	s_waitcnt lgkmcnt(0)
	v_lshlrev_b32_e32 v5, 2, v3
	v_or_b32_e32 v6, 0x80, v5
	ds_bpermute_b32 v7, v6, v1
	ds_bpermute_b32 v6, v6, v2
	v_add_u32_e32 v8, 32, v3
	v_cmp_lt_u32_e32 vcc, v8, v4
	s_and_saveexec_b64 s[10:11], vcc
	s_cbranch_execz .LBB7_32
; %bb.31:
	s_waitcnt lgkmcnt(1)
	v_max_f32_e32 v4, v7, v7
	v_max_f32_e32 v1, v1, v1
	v_min_f32_e32 v1, v1, v4
	s_waitcnt lgkmcnt(0)
	v_max_f32_e32 v4, v6, v6
	v_max_f32_e32 v2, v2, v2
	;; [unrolled: 1-line block ×3, first 2 shown]
.LBB7_32:
	s_or_b64 exec, exec, s[10:11]
	v_cmp_eq_u32_e32 vcc, 0, v3
	s_and_saveexec_b64 s[10:11], vcc
; %bb.33:
	v_lshrrev_b32_e32 v4, 3, v0
	v_and_b32_e32 v4, 0x78, v4
	ds_write_b64 v4, v[1:2]
; %bb.34:
	s_or_b64 exec, exec, s[10:11]
	s_load_dwordx2 s[10:11], s[4:5], 0x8
	v_cmp_gt_u32_e32 vcc, 4, v0
	s_waitcnt lgkmcnt(0)
	s_barrier
	s_and_saveexec_b64 s[14:15], vcc
	s_cbranch_execz .LBB7_40
; %bb.35:
	v_lshlrev_b32_e32 v1, 3, v3
	ds_read_b64 v[1:2], v1
	v_and_b32_e32 v4, 3, v3
	v_cmp_ne_u32_e32 vcc, 3, v4
	v_addc_co_u32_e32 v3, vcc, 0, v3, vcc
	v_lshlrev_b32_e32 v3, 2, v3
	s_waitcnt lgkmcnt(0)
	ds_bpermute_b32 v6, v3, v1
	ds_bpermute_b32 v3, v3, v2
	s_add_i32 s16, s18, 63
	s_lshr_b32 s21, s16, 6
	v_add_u32_e32 v7, 1, v4
	v_cmp_gt_u32_e32 vcc, s21, v7
	s_and_saveexec_b64 s[16:17], vcc
	s_cbranch_execz .LBB7_37
; %bb.36:
	s_waitcnt lgkmcnt(1)
	v_max_f32_e32 v6, v6, v6
	v_max_f32_e32 v1, v1, v1
	s_waitcnt lgkmcnt(0)
	v_max_f32_e32 v3, v3, v3
	v_max_f32_e32 v2, v2, v2
	v_min_f32_e32 v1, v1, v6
	v_max_f32_e32 v2, v2, v3
.LBB7_37:
	s_or_b64 exec, exec, s[16:17]
	s_waitcnt lgkmcnt(0)
	v_or_b32_e32 v3, 8, v5
	ds_bpermute_b32 v5, v3, v1
	ds_bpermute_b32 v3, v3, v2
	v_add_u32_e32 v4, 2, v4
	v_cmp_gt_u32_e32 vcc, s21, v4
	s_and_saveexec_b64 s[16:17], vcc
	s_cbranch_execz .LBB7_39
; %bb.38:
	s_waitcnt lgkmcnt(1)
	v_max_f32_e32 v4, v5, v5
	v_max_f32_e32 v1, v1, v1
	s_waitcnt lgkmcnt(0)
	v_max_f32_e32 v3, v3, v3
	v_max_f32_e32 v2, v2, v2
	v_min_f32_e32 v1, v1, v4
	v_max_f32_e32 v2, v2, v3
.LBB7_39:
	s_or_b64 exec, exec, s[16:17]
.LBB7_40:
	s_or_b64 exec, exec, s[14:15]
	v_cmp_eq_u32_e32 vcc, 0, v0
	s_and_saveexec_b64 s[14:15], vcc
	s_cbranch_execz .LBB7_42
; %bb.41:
	v_sub_f32_e32 v2, v2, v1
	s_mov_b32 s21, 0x437f0000
	s_waitcnt lgkmcnt(0)
	v_div_scale_f32 v3, s[16:17], s21, s21, v2
	v_div_scale_f32 v4, vcc, v2, s21, v2
	s_load_dwordx4 s[24:27], s[4:5], 0x10
	s_lshl_b64 s[4:5], s[6:7], 2
	s_waitcnt lgkmcnt(0)
	s_add_u32 s6, s24, s4
	s_addc_u32 s7, s25, s5
	s_add_u32 s4, s26, s4
	s_addc_u32 s5, s27, s5
	v_rcp_f32_e32 v5, v3
	v_fma_f32 v6, -v3, v5, 1.0
	v_fmac_f32_e32 v5, v6, v5
	v_mul_f32_e32 v6, v4, v5
	v_fma_f32 v7, -v3, v6, v4
	v_fmac_f32_e32 v6, v7, v5
	v_fma_f32 v3, -v3, v6, v4
	v_div_fmas_f32 v3, v3, v5, v6
	v_div_fixup_f32 v2, v3, s21, v2
	v_div_scale_f32 v3, s[16:17], v2, v2, v1
	v_div_scale_f32 v4, vcc, v1, v2, v1
	v_rcp_f32_e32 v5, v3
	v_fma_f32 v6, -v3, v5, 1.0
	v_fmac_f32_e32 v5, v6, v5
	v_mul_f32_e32 v6, v4, v5
	v_fma_f32 v7, -v3, v6, v4
	v_fmac_f32_e32 v6, v7, v5
	v_fma_f32 v3, -v3, v6, v4
	v_div_fmas_f32 v3, v3, v5, v6
	v_mov_b32_e32 v4, 0
	global_store_dword v4, v2, s[6:7]
	v_div_fixup_f32 v1, v3, v2, v1
	v_sub_f32_e32 v1, 0xc3000000, v1
	v_rndne_f32_e32 v1, v1
	v_cvt_i32_f32_e32 v1, v1
	ds_write_b64 v4, v[1:2] offset:32
	global_store_dword v4, v1, s[4:5]
.LBB7_42:
	s_or_b64 exec, exec, s[14:15]
	v_mov_b32_e32 v1, 0
	s_waitcnt vmcnt(0) lgkmcnt(0)
	s_barrier
	ds_read_b64 v[17:18], v1 offset:32
	s_waitcnt lgkmcnt(0)
	v_div_scale_f32 v1, s[4:5], v18, v18, 1.0
	v_div_scale_f32 v2, vcc, 1.0, v18, 1.0
	s_mov_b64 s[4:5], -1
	v_rcp_f32_e32 v3, v1
	v_fma_f32 v4, -v1, v3, 1.0
	v_fmac_f32_e32 v3, v4, v3
	v_mul_f32_e32 v4, v2, v3
	v_fma_f32 v5, -v1, v4, v2
	v_fmac_f32_e32 v4, v5, v3
	v_fma_f32 v1, -v1, v4, v2
	v_div_fmas_f32 v1, v1, v3, v4
	s_and_b64 vcc, exec, s[12:13]
	v_div_fixup_f32 v22, v1, v18, 1.0
	s_cbranch_vccz .LBB7_125
; %bb.43:
	s_sub_i32 s4, 0, s20
	s_bfe_u32 s4, s4, 0x40002
	s_min_i32 s4, s4, s19
	v_cmp_gt_i32_e32 vcc, s4, v0
	s_and_saveexec_b64 s[6:7], vcc
	s_cbranch_execz .LBB7_50
; %bb.44:
	s_add_u32 s5, s10, s8
	s_addc_u32 s14, s11, s9
	s_add_u32 s12, s0, s2
	v_mov_b32_e32 v1, 0
	v_lshlrev_b32_e32 v2, 2, v0
	s_addc_u32 s13, s1, s3
	v_mov_b32_e32 v3, s13
	v_add_co_u32_e32 v2, vcc, s12, v2
	v_mov_b32_e32 v5, v1
	v_addc_co_u32_e32 v3, vcc, 0, v3, vcc
	s_lshl_b32 s20, s18, 2
	s_mov_b64 s[12:13], 0
	s_mov_b32 s21, 0x4f000000
	s_mov_b32 s22, 0xcf000000
	v_mov_b32_e32 v6, s14
	s_movk_i32 s23, 0xff80
	v_mov_b32_e32 v7, 0x7f
	v_mov_b32_e32 v4, v0
	s_branch .LBB7_47
.LBB7_45:                               ;   in Loop: Header=BB7_47 Depth=1
	s_or_b64 exec, exec, s[16:17]
.LBB7_46:                               ;   in Loop: Header=BB7_47 Depth=1
	s_or_b64 exec, exec, s[14:15]
	v_add_co_u32_e32 v8, vcc, s5, v4
	v_addc_co_u32_e32 v9, vcc, v6, v5, vcc
	v_add_co_u32_e32 v4, vcc, s18, v4
	v_addc_co_u32_e32 v5, vcc, 0, v5, vcc
	v_cmp_le_i32_e32 vcc, s4, v4
	v_add_u32_e32 v1, v1, v17
	s_or_b64 s[12:13], vcc, s[12:13]
	v_add_co_u32_e32 v2, vcc, s20, v2
	v_med3_i32 v1, v1, s23, v7
	v_addc_co_u32_e32 v3, vcc, 0, v3, vcc
	global_store_byte v[8:9], v1, off
	s_andn2_b64 exec, exec, s[12:13]
	s_cbranch_execz .LBB7_50
.LBB7_47:                               ; =>This Inner Loop Header: Depth=1
	global_load_dword v1, v[2:3], off
	s_waitcnt vmcnt(0)
	v_mul_f32_e32 v1, v22, v1
	v_rndne_f32_e32 v8, v1
	v_cmp_nle_f32_e32 vcc, s21, v8
	v_bfrev_b32_e32 v1, -2
	s_and_saveexec_b64 s[14:15], vcc
	s_cbranch_execz .LBB7_46
; %bb.48:                               ;   in Loop: Header=BB7_47 Depth=1
	v_cmp_nge_f32_e32 vcc, s22, v8
	v_bfrev_b32_e32 v1, 1
	s_and_saveexec_b64 s[16:17], vcc
	s_cbranch_execz .LBB7_45
; %bb.49:                               ;   in Loop: Header=BB7_47 Depth=1
	v_cvt_i32_f32_e32 v1, v8
	s_branch .LBB7_45
.LBB7_50:
	s_or_b64 exec, exec, s[6:7]
	s_sub_i32 s20, s19, s4
	s_ashr_i32 s6, s20, 31
	s_lshr_b32 s6, s6, 28
	s_add_i32 s6, s20, s6
	s_ashr_i32 s21, s6, 4
	s_ashr_i32 s5, s4, 31
	v_cmp_gt_i32_e32 vcc, s21, v0
	s_and_saveexec_b64 s[6:7], vcc
	s_cbranch_execz .LBB7_117
; %bb.51:
	s_add_u32 s12, s4, s8
	s_addc_u32 s13, s5, s9
	s_add_u32 s12, s10, s12
	v_lshlrev_b32_e32 v1, 4, v0
	s_addc_u32 s13, s11, s13
	v_mov_b32_e32 v2, s13
	v_add_co_u32_e32 v1, vcc, s12, v1
	s_lshl_b32 s22, s18, 4
	s_lshl_b64 s[12:13], s[4:5], 2
	s_add_u32 s12, s0, s12
	v_addc_co_u32_e32 v2, vcc, 0, v2, vcc
	s_addc_u32 s13, s1, s13
	v_add_co_u32_e32 v18, vcc, 7, v1
	s_add_u32 s12, s12, s2
	v_addc_co_u32_e32 v19, vcc, 0, v2, vcc
	v_lshlrev_b32_e32 v1, 6, v0
	s_addc_u32 s13, s13, s3
	v_mov_b32_e32 v2, s13
	v_add_co_u32_e32 v20, vcc, s12, v1
	v_addc_co_u32_e32 v21, vcc, 0, v2, vcc
	s_lshl_b32 s23, s18, 6
	s_mov_b64 s[12:13], 0
	s_mov_b32 s24, 0x4f000000
	s_mov_b32 s25, 0xcf000000
	s_movk_i32 s26, 0xff80
	v_mov_b32_e32 v23, 0x7f
	v_mov_b32_e32 v24, v0
	s_branch .LBB7_54
.LBB7_52:                               ;   in Loop: Header=BB7_54 Depth=1
	s_or_b64 exec, exec, s[16:17]
.LBB7_53:                               ;   in Loop: Header=BB7_54 Depth=1
	s_or_b64 exec, exec, s[14:15]
	v_add_u32_e32 v4, v8, v17
	v_add_u32_e32 v2, v2, v17
	;; [unrolled: 1-line block ×3, first 2 shown]
	v_med3_i32 v4, v4, s26, v23
	v_add_u32_e32 v1, v1, v17
	v_med3_i32 v2, v2, s26, v23
	v_med3_i32 v3, v3, s26, v23
	v_med3_i32 v1, v1, s26, v23
	v_add_u32_e32 v7, v7, v17
	v_add_u32_e32 v8, v12, v17
	v_lshlrev_b16_e32 v4, 8, v4
	v_lshlrev_b16_e32 v2, 8, v2
	v_med3_i32 v7, v7, s26, v23
	v_add_u32_e32 v6, v6, v17
	v_med3_i32 v8, v8, s26, v23
	v_add_u32_e32 v5, v5, v17
	v_or_b32_sdwa v1, v1, v4 dst_sel:DWORD dst_unused:UNUSED_PAD src0_sel:BYTE_0 src1_sel:DWORD
	v_or_b32_sdwa v2, v3, v2 dst_sel:WORD_1 dst_unused:UNUSED_PAD src0_sel:BYTE_0 src1_sel:DWORD
	v_med3_i32 v6, v6, s26, v23
	v_med3_i32 v5, v5, s26, v23
	v_add_u32_e32 v11, v11, v17
	v_add_u32_e32 v12, v16, v17
	v_or_b32_sdwa v4, v1, v2 dst_sel:DWORD dst_unused:UNUSED_PAD src0_sel:WORD_0 src1_sel:DWORD
	v_lshlrev_b16_e32 v1, 8, v8
	v_lshlrev_b16_e32 v2, 8, v7
	v_med3_i32 v11, v11, s26, v23
	v_add_u32_e32 v10, v10, v17
	v_med3_i32 v12, v12, s26, v23
	v_add_u32_e32 v9, v9, v17
	v_or_b32_sdwa v1, v5, v1 dst_sel:DWORD dst_unused:UNUSED_PAD src0_sel:BYTE_0 src1_sel:DWORD
	v_or_b32_sdwa v2, v6, v2 dst_sel:WORD_1 dst_unused:UNUSED_PAD src0_sel:BYTE_0 src1_sel:DWORD
	v_med3_i32 v10, v10, s26, v23
	v_med3_i32 v9, v9, s26, v23
	v_add_u32_e32 v15, v15, v17
	v_add_u32_e32 v16, v25, v17
	v_or_b32_sdwa v3, v1, v2 dst_sel:DWORD dst_unused:UNUSED_PAD src0_sel:WORD_0 src1_sel:DWORD
	v_lshlrev_b16_e32 v1, 8, v12
	v_lshlrev_b16_e32 v2, 8, v11
	v_med3_i32 v15, v15, s26, v23
	v_add_u32_e32 v14, v14, v17
	v_med3_i32 v16, v16, s26, v23
	v_add_u32_e32 v13, v13, v17
	v_or_b32_sdwa v1, v9, v1 dst_sel:DWORD dst_unused:UNUSED_PAD src0_sel:BYTE_0 src1_sel:DWORD
	v_or_b32_sdwa v2, v10, v2 dst_sel:WORD_1 dst_unused:UNUSED_PAD src0_sel:BYTE_0 src1_sel:DWORD
	v_med3_i32 v14, v14, s26, v23
	v_med3_i32 v13, v13, s26, v23
	v_or_b32_sdwa v2, v1, v2 dst_sel:DWORD dst_unused:UNUSED_PAD src0_sel:WORD_0 src1_sel:DWORD
	v_lshlrev_b16_e32 v1, 8, v16
	v_lshlrev_b16_e32 v5, 8, v15
	v_or_b32_sdwa v1, v13, v1 dst_sel:DWORD dst_unused:UNUSED_PAD src0_sel:BYTE_0 src1_sel:DWORD
	v_or_b32_sdwa v5, v14, v5 dst_sel:WORD_1 dst_unused:UNUSED_PAD src0_sel:BYTE_0 src1_sel:DWORD
	v_or_b32_sdwa v1, v1, v5 dst_sel:DWORD dst_unused:UNUSED_PAD src0_sel:WORD_0 src1_sel:DWORD
	global_store_dwordx4 v[18:19], v[1:4], off offset:-7
	v_add_co_u32_e32 v18, vcc, s22, v18
	v_add_u32_e32 v24, s18, v24
	v_addc_co_u32_e32 v19, vcc, 0, v19, vcc
	v_cmp_le_i32_e32 vcc, s21, v24
	s_or_b64 s[12:13], vcc, s[12:13]
	v_add_co_u32_e32 v20, vcc, s23, v20
	v_addc_co_u32_e32 v21, vcc, 0, v21, vcc
	s_andn2_b64 exec, exec, s[12:13]
	s_cbranch_execz .LBB7_117
.LBB7_54:                               ; =>This Inner Loop Header: Depth=1
	global_load_dwordx4 v[13:16], v[20:21], off
	global_load_dwordx4 v[9:12], v[20:21], off offset:16
	global_load_dwordx4 v[1:4], v[20:21], off offset:48
	;; [unrolled: 1-line block ×3, first 2 shown]
	v_bfrev_b32_e32 v25, -2
	s_waitcnt vmcnt(3)
	v_mul_f32_e32 v13, v22, v13
	v_rndne_f32_e32 v26, v13
	v_cmp_nle_f32_e32 vcc, s24, v26
	v_bfrev_b32_e32 v13, -2
	s_and_saveexec_b64 s[14:15], vcc
	s_cbranch_execz .LBB7_58
; %bb.55:                               ;   in Loop: Header=BB7_54 Depth=1
	v_cmp_nge_f32_e32 vcc, s25, v26
	v_bfrev_b32_e32 v13, 1
	s_and_saveexec_b64 s[16:17], vcc
; %bb.56:                               ;   in Loop: Header=BB7_54 Depth=1
	v_cvt_i32_f32_e32 v13, v26
; %bb.57:                               ;   in Loop: Header=BB7_54 Depth=1
	s_or_b64 exec, exec, s[16:17]
.LBB7_58:                               ;   in Loop: Header=BB7_54 Depth=1
	s_or_b64 exec, exec, s[14:15]
	v_mul_f32_e32 v14, v22, v14
	v_rndne_f32_e32 v14, v14
	v_cmp_nle_f32_e32 vcc, s24, v14
	s_and_saveexec_b64 s[14:15], vcc
	s_cbranch_execz .LBB7_62
; %bb.59:                               ;   in Loop: Header=BB7_54 Depth=1
	v_cmp_nge_f32_e32 vcc, s25, v14
	v_bfrev_b32_e32 v25, 1
	s_and_saveexec_b64 s[16:17], vcc
; %bb.60:                               ;   in Loop: Header=BB7_54 Depth=1
	v_cvt_i32_f32_e32 v25, v14
; %bb.61:                               ;   in Loop: Header=BB7_54 Depth=1
	s_or_b64 exec, exec, s[16:17]
.LBB7_62:                               ;   in Loop: Header=BB7_54 Depth=1
	s_or_b64 exec, exec, s[14:15]
	v_mul_f32_e32 v14, v22, v15
	v_rndne_f32_e32 v26, v14
	v_cmp_nle_f32_e32 vcc, s24, v26
	v_bfrev_b32_e32 v15, -2
	v_bfrev_b32_e32 v14, -2
	s_and_saveexec_b64 s[14:15], vcc
	s_cbranch_execz .LBB7_66
; %bb.63:                               ;   in Loop: Header=BB7_54 Depth=1
	v_cmp_nge_f32_e32 vcc, s25, v26
	v_bfrev_b32_e32 v14, 1
	s_and_saveexec_b64 s[16:17], vcc
; %bb.64:                               ;   in Loop: Header=BB7_54 Depth=1
	v_cvt_i32_f32_e32 v14, v26
; %bb.65:                               ;   in Loop: Header=BB7_54 Depth=1
	s_or_b64 exec, exec, s[16:17]
.LBB7_66:                               ;   in Loop: Header=BB7_54 Depth=1
	s_or_b64 exec, exec, s[14:15]
	v_mul_f32_e32 v16, v22, v16
	v_rndne_f32_e32 v16, v16
	v_cmp_nle_f32_e32 vcc, s24, v16
	s_and_saveexec_b64 s[14:15], vcc
	s_cbranch_execz .LBB7_70
; %bb.67:                               ;   in Loop: Header=BB7_54 Depth=1
	v_cmp_nge_f32_e32 vcc, s25, v16
	v_bfrev_b32_e32 v15, 1
	s_and_saveexec_b64 s[16:17], vcc
; %bb.68:                               ;   in Loop: Header=BB7_54 Depth=1
	v_cvt_i32_f32_e32 v15, v16
; %bb.69:                               ;   in Loop: Header=BB7_54 Depth=1
	s_or_b64 exec, exec, s[16:17]
.LBB7_70:                               ;   in Loop: Header=BB7_54 Depth=1
	s_or_b64 exec, exec, s[14:15]
	s_waitcnt vmcnt(2)
	v_mul_f32_e32 v9, v22, v9
	v_rndne_f32_e32 v26, v9
	v_cmp_nle_f32_e32 vcc, s24, v26
	v_bfrev_b32_e32 v16, -2
	v_bfrev_b32_e32 v9, -2
	s_and_saveexec_b64 s[14:15], vcc
	s_cbranch_execz .LBB7_74
; %bb.71:                               ;   in Loop: Header=BB7_54 Depth=1
	v_cmp_nge_f32_e32 vcc, s25, v26
	v_bfrev_b32_e32 v9, 1
	s_and_saveexec_b64 s[16:17], vcc
; %bb.72:                               ;   in Loop: Header=BB7_54 Depth=1
	v_cvt_i32_f32_e32 v9, v26
; %bb.73:                               ;   in Loop: Header=BB7_54 Depth=1
	s_or_b64 exec, exec, s[16:17]
.LBB7_74:                               ;   in Loop: Header=BB7_54 Depth=1
	s_or_b64 exec, exec, s[14:15]
	v_mul_f32_e32 v10, v22, v10
	v_rndne_f32_e32 v10, v10
	v_cmp_nle_f32_e32 vcc, s24, v10
	s_and_saveexec_b64 s[14:15], vcc
	s_cbranch_execz .LBB7_78
; %bb.75:                               ;   in Loop: Header=BB7_54 Depth=1
	v_cmp_nge_f32_e32 vcc, s25, v10
	v_bfrev_b32_e32 v16, 1
	s_and_saveexec_b64 s[16:17], vcc
; %bb.76:                               ;   in Loop: Header=BB7_54 Depth=1
	v_cvt_i32_f32_e32 v16, v10
; %bb.77:                               ;   in Loop: Header=BB7_54 Depth=1
	s_or_b64 exec, exec, s[16:17]
.LBB7_78:                               ;   in Loop: Header=BB7_54 Depth=1
	s_or_b64 exec, exec, s[14:15]
	v_mul_f32_e32 v10, v22, v11
	v_rndne_f32_e32 v26, v10
	v_cmp_nle_f32_e32 vcc, s24, v26
	v_bfrev_b32_e32 v11, -2
	v_bfrev_b32_e32 v10, -2
	s_and_saveexec_b64 s[14:15], vcc
	s_cbranch_execz .LBB7_82
; %bb.79:                               ;   in Loop: Header=BB7_54 Depth=1
	v_cmp_nge_f32_e32 vcc, s25, v26
	v_bfrev_b32_e32 v10, 1
	s_and_saveexec_b64 s[16:17], vcc
; %bb.80:                               ;   in Loop: Header=BB7_54 Depth=1
	v_cvt_i32_f32_e32 v10, v26
; %bb.81:                               ;   in Loop: Header=BB7_54 Depth=1
	s_or_b64 exec, exec, s[16:17]
.LBB7_82:                               ;   in Loop: Header=BB7_54 Depth=1
	s_or_b64 exec, exec, s[14:15]
	v_mul_f32_e32 v12, v22, v12
	v_rndne_f32_e32 v12, v12
	v_cmp_nle_f32_e32 vcc, s24, v12
	s_and_saveexec_b64 s[14:15], vcc
	s_cbranch_execz .LBB7_86
; %bb.83:                               ;   in Loop: Header=BB7_54 Depth=1
	v_cmp_nge_f32_e32 vcc, s25, v12
	v_bfrev_b32_e32 v11, 1
	s_and_saveexec_b64 s[16:17], vcc
; %bb.84:                               ;   in Loop: Header=BB7_54 Depth=1
	v_cvt_i32_f32_e32 v11, v12
; %bb.85:                               ;   in Loop: Header=BB7_54 Depth=1
	s_or_b64 exec, exec, s[16:17]
.LBB7_86:                               ;   in Loop: Header=BB7_54 Depth=1
	s_or_b64 exec, exec, s[14:15]
	s_waitcnt vmcnt(0)
	v_mul_f32_e32 v5, v22, v5
	v_rndne_f32_e32 v26, v5
	v_cmp_nle_f32_e32 vcc, s24, v26
	v_bfrev_b32_e32 v12, -2
	v_bfrev_b32_e32 v5, -2
	s_and_saveexec_b64 s[14:15], vcc
	s_cbranch_execz .LBB7_90
; %bb.87:                               ;   in Loop: Header=BB7_54 Depth=1
	v_cmp_nge_f32_e32 vcc, s25, v26
	v_bfrev_b32_e32 v5, 1
	s_and_saveexec_b64 s[16:17], vcc
; %bb.88:                               ;   in Loop: Header=BB7_54 Depth=1
	v_cvt_i32_f32_e32 v5, v26
; %bb.89:                               ;   in Loop: Header=BB7_54 Depth=1
	s_or_b64 exec, exec, s[16:17]
.LBB7_90:                               ;   in Loop: Header=BB7_54 Depth=1
	s_or_b64 exec, exec, s[14:15]
	v_mul_f32_e32 v6, v22, v6
	v_rndne_f32_e32 v6, v6
	v_cmp_nle_f32_e32 vcc, s24, v6
	s_and_saveexec_b64 s[14:15], vcc
	s_cbranch_execz .LBB7_94
; %bb.91:                               ;   in Loop: Header=BB7_54 Depth=1
	v_cmp_nge_f32_e32 vcc, s25, v6
	v_bfrev_b32_e32 v12, 1
	s_and_saveexec_b64 s[16:17], vcc
; %bb.92:                               ;   in Loop: Header=BB7_54 Depth=1
	v_cvt_i32_f32_e32 v12, v6
; %bb.93:                               ;   in Loop: Header=BB7_54 Depth=1
	s_or_b64 exec, exec, s[16:17]
.LBB7_94:                               ;   in Loop: Header=BB7_54 Depth=1
	s_or_b64 exec, exec, s[14:15]
	v_mul_f32_e32 v6, v22, v7
	v_rndne_f32_e32 v26, v6
	v_cmp_nle_f32_e32 vcc, s24, v26
	v_bfrev_b32_e32 v7, -2
	v_bfrev_b32_e32 v6, -2
	s_and_saveexec_b64 s[14:15], vcc
	s_cbranch_execz .LBB7_98
; %bb.95:                               ;   in Loop: Header=BB7_54 Depth=1
	v_cmp_nge_f32_e32 vcc, s25, v26
	v_bfrev_b32_e32 v6, 1
	s_and_saveexec_b64 s[16:17], vcc
; %bb.96:                               ;   in Loop: Header=BB7_54 Depth=1
	v_cvt_i32_f32_e32 v6, v26
; %bb.97:                               ;   in Loop: Header=BB7_54 Depth=1
	s_or_b64 exec, exec, s[16:17]
.LBB7_98:                               ;   in Loop: Header=BB7_54 Depth=1
	s_or_b64 exec, exec, s[14:15]
	v_mul_f32_e32 v8, v22, v8
	v_rndne_f32_e32 v8, v8
	v_cmp_nle_f32_e32 vcc, s24, v8
	s_and_saveexec_b64 s[14:15], vcc
	s_cbranch_execz .LBB7_102
; %bb.99:                               ;   in Loop: Header=BB7_54 Depth=1
	v_cmp_nge_f32_e32 vcc, s25, v8
	v_bfrev_b32_e32 v7, 1
	s_and_saveexec_b64 s[16:17], vcc
; %bb.100:                              ;   in Loop: Header=BB7_54 Depth=1
	v_cvt_i32_f32_e32 v7, v8
; %bb.101:                              ;   in Loop: Header=BB7_54 Depth=1
	s_or_b64 exec, exec, s[16:17]
.LBB7_102:                              ;   in Loop: Header=BB7_54 Depth=1
	s_or_b64 exec, exec, s[14:15]
	v_mul_f32_e32 v1, v22, v1
	v_rndne_f32_e32 v26, v1
	v_cmp_nle_f32_e32 vcc, s24, v26
	v_bfrev_b32_e32 v8, -2
	v_bfrev_b32_e32 v1, -2
	s_and_saveexec_b64 s[14:15], vcc
	s_cbranch_execz .LBB7_106
; %bb.103:                              ;   in Loop: Header=BB7_54 Depth=1
	v_cmp_nge_f32_e32 vcc, s25, v26
	v_bfrev_b32_e32 v1, 1
	s_and_saveexec_b64 s[16:17], vcc
; %bb.104:                              ;   in Loop: Header=BB7_54 Depth=1
	v_cvt_i32_f32_e32 v1, v26
; %bb.105:                              ;   in Loop: Header=BB7_54 Depth=1
	s_or_b64 exec, exec, s[16:17]
.LBB7_106:                              ;   in Loop: Header=BB7_54 Depth=1
	s_or_b64 exec, exec, s[14:15]
	v_mul_f32_e32 v2, v22, v2
	v_rndne_f32_e32 v2, v2
	v_cmp_nle_f32_e32 vcc, s24, v2
	s_and_saveexec_b64 s[14:15], vcc
	s_cbranch_execz .LBB7_110
; %bb.107:                              ;   in Loop: Header=BB7_54 Depth=1
	v_cmp_nge_f32_e32 vcc, s25, v2
	v_bfrev_b32_e32 v8, 1
	s_and_saveexec_b64 s[16:17], vcc
; %bb.108:                              ;   in Loop: Header=BB7_54 Depth=1
	v_cvt_i32_f32_e32 v8, v2
; %bb.109:                              ;   in Loop: Header=BB7_54 Depth=1
	s_or_b64 exec, exec, s[16:17]
.LBB7_110:                              ;   in Loop: Header=BB7_54 Depth=1
	s_or_b64 exec, exec, s[14:15]
	v_mul_f32_e32 v2, v22, v3
	v_rndne_f32_e32 v26, v2
	v_cmp_nle_f32_e32 vcc, s24, v26
	v_bfrev_b32_e32 v2, -2
	v_bfrev_b32_e32 v3, -2
	s_and_saveexec_b64 s[14:15], vcc
	s_cbranch_execz .LBB7_114
; %bb.111:                              ;   in Loop: Header=BB7_54 Depth=1
	v_cmp_nge_f32_e32 vcc, s25, v26
	v_bfrev_b32_e32 v3, 1
	s_and_saveexec_b64 s[16:17], vcc
; %bb.112:                              ;   in Loop: Header=BB7_54 Depth=1
	v_cvt_i32_f32_e32 v3, v26
; %bb.113:                              ;   in Loop: Header=BB7_54 Depth=1
	s_or_b64 exec, exec, s[16:17]
.LBB7_114:                              ;   in Loop: Header=BB7_54 Depth=1
	s_or_b64 exec, exec, s[14:15]
	v_mul_f32_e32 v4, v22, v4
	v_rndne_f32_e32 v4, v4
	v_cmp_nle_f32_e32 vcc, s24, v4
	s_and_saveexec_b64 s[14:15], vcc
	s_cbranch_execz .LBB7_53
; %bb.115:                              ;   in Loop: Header=BB7_54 Depth=1
	v_cmp_nge_f32_e32 vcc, s25, v4
	v_bfrev_b32_e32 v2, 1
	s_and_saveexec_b64 s[16:17], vcc
	s_cbranch_execz .LBB7_52
; %bb.116:                              ;   in Loop: Header=BB7_54 Depth=1
	v_cvt_i32_f32_e32 v2, v4
	s_branch .LBB7_52
.LBB7_117:
	s_or_b64 exec, exec, s[6:7]
	v_lshl_add_u32 v1, s21, 4, v0
	v_cmp_gt_i32_e32 vcc, s20, v1
	s_and_saveexec_b64 s[6:7], vcc
	s_cbranch_execz .LBB7_124
; %bb.118:
	s_lshl_b64 s[12:13], s[4:5], 2
	s_add_u32 s12, s2, s12
	s_addc_u32 s13, s3, s13
	s_add_u32 s12, s0, s12
	v_ashrrev_i32_e32 v2, 31, v1
	s_addc_u32 s13, s1, s13
	s_lshl_b32 s21, s18, 2
	v_lshlrev_b64 v[3:4], 2, v[1:2]
	s_add_u32 s4, s4, s8
	s_addc_u32 s5, s5, s9
	v_mov_b32_e32 v5, s13
	v_add_co_u32_e32 v3, vcc, s12, v3
	s_add_u32 s4, s10, s4
	v_addc_co_u32_e32 v4, vcc, v5, v4, vcc
	s_addc_u32 s5, s11, s5
	v_mov_b32_e32 v6, s5
	v_add_co_u32_e32 v5, vcc, s4, v1
	v_addc_co_u32_e32 v2, vcc, v6, v2, vcc
	s_mov_b64 s[4:5], 0
	s_mov_b32 s22, 0x4f000000
	s_mov_b32 s23, 0xcf000000
	s_movk_i32 s24, 0xff80
	v_mov_b32_e32 v6, 0x7f
	s_mov_b64 s[12:13], 0
	s_branch .LBB7_121
.LBB7_119:                              ;   in Loop: Header=BB7_121 Depth=1
	s_or_b64 exec, exec, s[16:17]
.LBB7_120:                              ;   in Loop: Header=BB7_121 Depth=1
	s_or_b64 exec, exec, s[14:15]
	v_mov_b32_e32 v9, s13
	v_add_co_u32_e32 v8, vcc, s12, v5
	v_add_u32_e32 v7, v7, v17
	v_addc_co_u32_e32 v9, vcc, v2, v9, vcc
	v_med3_i32 v7, v7, s24, v6
	s_add_u32 s12, s12, s18
	global_store_byte v[8:9], v7, off
	v_add_u32_e32 v7, s12, v1
	s_addc_u32 s13, s13, 0
	v_cmp_le_i32_e32 vcc, s20, v7
	s_or_b64 s[4:5], vcc, s[4:5]
	v_add_co_u32_e32 v3, vcc, s21, v3
	v_addc_co_u32_e32 v4, vcc, 0, v4, vcc
	s_andn2_b64 exec, exec, s[4:5]
	s_cbranch_execz .LBB7_124
.LBB7_121:                              ; =>This Inner Loop Header: Depth=1
	global_load_dword v7, v[3:4], off
	s_waitcnt vmcnt(0)
	v_mul_f32_e32 v7, v22, v7
	v_rndne_f32_e32 v8, v7
	v_cmp_nle_f32_e32 vcc, s22, v8
	v_bfrev_b32_e32 v7, -2
	s_and_saveexec_b64 s[14:15], vcc
	s_cbranch_execz .LBB7_120
; %bb.122:                              ;   in Loop: Header=BB7_121 Depth=1
	v_cmp_nge_f32_e32 vcc, s23, v8
	v_bfrev_b32_e32 v7, 1
	s_and_saveexec_b64 s[16:17], vcc
	s_cbranch_execz .LBB7_119
; %bb.123:                              ;   in Loop: Header=BB7_121 Depth=1
	v_cvt_i32_f32_e32 v7, v8
	s_branch .LBB7_119
.LBB7_124:
	s_or_b64 exec, exec, s[6:7]
	s_mov_b64 s[4:5], 0
.LBB7_125:
	s_and_b64 vcc, exec, s[4:5]
	s_cbranch_vccz .LBB7_193
; %bb.126:
	s_ashr_i32 s6, s19, 4
	v_cmp_gt_i32_e32 vcc, s6, v0
	s_and_saveexec_b64 s[4:5], vcc
	s_cbranch_execz .LBB7_193
; %bb.127:
	s_add_u32 s4, s10, s8
	v_lshlrev_b32_e32 v1, 4, v0
	s_addc_u32 s5, s11, s9
	v_mov_b32_e32 v2, s5
	v_add_co_u32_e32 v1, vcc, s4, v1
	v_addc_co_u32_e32 v2, vcc, 0, v2, vcc
	s_lshl_b32 s7, s18, 4
	v_add_co_u32_e32 v18, vcc, 7, v1
	s_add_u32 s0, s0, s2
	v_addc_co_u32_e32 v19, vcc, 0, v2, vcc
	v_lshlrev_b32_e32 v1, 6, v0
	s_addc_u32 s1, s1, s3
	v_mov_b32_e32 v2, s1
	v_add_co_u32_e32 v20, vcc, s0, v1
	v_addc_co_u32_e32 v21, vcc, 0, v2, vcc
	s_lshl_b32 s8, s18, 6
	s_mov_b64 s[0:1], 0
	s_mov_b32 s9, 0x4f000000
	s_mov_b32 s10, 0xcf000000
	s_movk_i32 s11, 0xff80
	v_mov_b32_e32 v23, 0x7f
	s_branch .LBB7_130
.LBB7_128:                              ;   in Loop: Header=BB7_130 Depth=1
	s_or_b64 exec, exec, s[4:5]
.LBB7_129:                              ;   in Loop: Header=BB7_130 Depth=1
	s_or_b64 exec, exec, s[2:3]
	v_add_u32_e32 v4, v8, v17
	v_med3_i32 v4, v4, s11, v23
	v_add_u32_e32 v1, v1, v17
	v_med3_i32 v1, v1, s11, v23
	v_lshlrev_b16_e32 v4, 8, v4
	v_or_b32_sdwa v1, v1, v4 dst_sel:DWORD dst_unused:UNUSED_PAD src0_sel:BYTE_0 src1_sel:DWORD
	v_add_u32_e32 v4, v7, v17
	v_add_u32_e32 v2, v2, v17
	;; [unrolled: 1-line block ×3, first 2 shown]
	v_med3_i32 v7, v4, s11, v23
	v_add_u32_e32 v4, v6, v17
	v_med3_i32 v2, v2, s11, v23
	v_med3_i32 v3, v3, s11, v23
	;; [unrolled: 1-line block ×3, first 2 shown]
	v_add_u32_e32 v4, v12, v17
	v_lshlrev_b16_e32 v2, 8, v2
	v_med3_i32 v4, v4, s11, v23
	v_add_u32_e32 v5, v5, v17
	v_or_b32_sdwa v2, v3, v2 dst_sel:WORD_1 dst_unused:UNUSED_PAD src0_sel:BYTE_0 src1_sel:DWORD
	v_med3_i32 v5, v5, s11, v23
	v_add_u32_e32 v8, v11, v17
	v_add_u32_e32 v11, v16, v17
	v_lshlrev_b16_e32 v3, 8, v4
	v_or_b32_sdwa v4, v1, v2 dst_sel:DWORD dst_unused:UNUSED_PAD src0_sel:WORD_0 src1_sel:DWORD
	v_lshlrev_b16_e32 v1, 8, v7
	v_med3_i32 v8, v8, s11, v23
	v_add_u32_e32 v10, v10, v17
	v_med3_i32 v11, v11, s11, v23
	v_add_u32_e32 v9, v9, v17
	v_or_b32_sdwa v3, v5, v3 dst_sel:DWORD dst_unused:UNUSED_PAD src0_sel:BYTE_0 src1_sel:DWORD
	v_or_b32_sdwa v1, v6, v1 dst_sel:WORD_1 dst_unused:UNUSED_PAD src0_sel:BYTE_0 src1_sel:DWORD
	v_med3_i32 v10, v10, s11, v23
	v_med3_i32 v9, v9, s11, v23
	v_add_u32_e32 v12, v15, v17
	v_add_u32_e32 v15, v24, v17
	v_or_b32_sdwa v3, v3, v1 dst_sel:DWORD dst_unused:UNUSED_PAD src0_sel:WORD_0 src1_sel:DWORD
	v_lshlrev_b16_e32 v1, 8, v11
	v_lshlrev_b16_e32 v2, 8, v8
	v_med3_i32 v12, v12, s11, v23
	v_add_u32_e32 v14, v14, v17
	v_med3_i32 v15, v15, s11, v23
	v_add_u32_e32 v13, v13, v17
	v_or_b32_sdwa v1, v9, v1 dst_sel:DWORD dst_unused:UNUSED_PAD src0_sel:BYTE_0 src1_sel:DWORD
	v_or_b32_sdwa v2, v10, v2 dst_sel:WORD_1 dst_unused:UNUSED_PAD src0_sel:BYTE_0 src1_sel:DWORD
	v_med3_i32 v14, v14, s11, v23
	v_med3_i32 v13, v13, s11, v23
	v_or_b32_sdwa v2, v1, v2 dst_sel:DWORD dst_unused:UNUSED_PAD src0_sel:WORD_0 src1_sel:DWORD
	v_lshlrev_b16_e32 v1, 8, v15
	v_lshlrev_b16_e32 v5, 8, v12
	v_or_b32_sdwa v1, v13, v1 dst_sel:DWORD dst_unused:UNUSED_PAD src0_sel:BYTE_0 src1_sel:DWORD
	v_or_b32_sdwa v5, v14, v5 dst_sel:WORD_1 dst_unused:UNUSED_PAD src0_sel:BYTE_0 src1_sel:DWORD
	v_or_b32_sdwa v1, v1, v5 dst_sel:DWORD dst_unused:UNUSED_PAD src0_sel:WORD_0 src1_sel:DWORD
	global_store_dwordx4 v[18:19], v[1:4], off offset:-7
	v_add_co_u32_e32 v18, vcc, s7, v18
	v_add_u32_e32 v0, s18, v0
	v_addc_co_u32_e32 v19, vcc, 0, v19, vcc
	v_cmp_le_i32_e32 vcc, s6, v0
	s_or_b64 s[0:1], vcc, s[0:1]
	v_add_co_u32_e32 v20, vcc, s8, v20
	v_addc_co_u32_e32 v21, vcc, 0, v21, vcc
	s_andn2_b64 exec, exec, s[0:1]
	s_cbranch_execz .LBB7_193
.LBB7_130:                              ; =>This Inner Loop Header: Depth=1
	global_load_dwordx4 v[13:16], v[20:21], off
	global_load_dwordx4 v[9:12], v[20:21], off offset:16
	global_load_dwordx4 v[1:4], v[20:21], off offset:48
	;; [unrolled: 1-line block ×3, first 2 shown]
	v_bfrev_b32_e32 v24, -2
	s_waitcnt vmcnt(3)
	v_mul_f32_e32 v13, v22, v13
	v_rndne_f32_e32 v25, v13
	v_cmp_nle_f32_e32 vcc, s9, v25
	v_bfrev_b32_e32 v13, -2
	s_and_saveexec_b64 s[2:3], vcc
	s_cbranch_execz .LBB7_134
; %bb.131:                              ;   in Loop: Header=BB7_130 Depth=1
	v_cmp_nge_f32_e32 vcc, s10, v25
	v_bfrev_b32_e32 v13, 1
	s_and_saveexec_b64 s[4:5], vcc
; %bb.132:                              ;   in Loop: Header=BB7_130 Depth=1
	v_cvt_i32_f32_e32 v13, v25
; %bb.133:                              ;   in Loop: Header=BB7_130 Depth=1
	s_or_b64 exec, exec, s[4:5]
.LBB7_134:                              ;   in Loop: Header=BB7_130 Depth=1
	s_or_b64 exec, exec, s[2:3]
	v_mul_f32_e32 v14, v22, v14
	v_rndne_f32_e32 v14, v14
	v_cmp_nle_f32_e32 vcc, s9, v14
	s_and_saveexec_b64 s[2:3], vcc
	s_cbranch_execz .LBB7_138
; %bb.135:                              ;   in Loop: Header=BB7_130 Depth=1
	v_cmp_nge_f32_e32 vcc, s10, v14
	v_bfrev_b32_e32 v24, 1
	s_and_saveexec_b64 s[4:5], vcc
; %bb.136:                              ;   in Loop: Header=BB7_130 Depth=1
	v_cvt_i32_f32_e32 v24, v14
; %bb.137:                              ;   in Loop: Header=BB7_130 Depth=1
	s_or_b64 exec, exec, s[4:5]
.LBB7_138:                              ;   in Loop: Header=BB7_130 Depth=1
	s_or_b64 exec, exec, s[2:3]
	v_mul_f32_e32 v14, v22, v15
	v_rndne_f32_e32 v25, v14
	v_cmp_nle_f32_e32 vcc, s9, v25
	v_bfrev_b32_e32 v15, -2
	v_bfrev_b32_e32 v14, -2
	s_and_saveexec_b64 s[2:3], vcc
	s_cbranch_execz .LBB7_142
; %bb.139:                              ;   in Loop: Header=BB7_130 Depth=1
	v_cmp_nge_f32_e32 vcc, s10, v25
	v_bfrev_b32_e32 v14, 1
	s_and_saveexec_b64 s[4:5], vcc
; %bb.140:                              ;   in Loop: Header=BB7_130 Depth=1
	v_cvt_i32_f32_e32 v14, v25
; %bb.141:                              ;   in Loop: Header=BB7_130 Depth=1
	s_or_b64 exec, exec, s[4:5]
.LBB7_142:                              ;   in Loop: Header=BB7_130 Depth=1
	s_or_b64 exec, exec, s[2:3]
	v_mul_f32_e32 v16, v22, v16
	v_rndne_f32_e32 v16, v16
	v_cmp_nle_f32_e32 vcc, s9, v16
	s_and_saveexec_b64 s[2:3], vcc
	s_cbranch_execz .LBB7_146
; %bb.143:                              ;   in Loop: Header=BB7_130 Depth=1
	v_cmp_nge_f32_e32 vcc, s10, v16
	v_bfrev_b32_e32 v15, 1
	s_and_saveexec_b64 s[4:5], vcc
; %bb.144:                              ;   in Loop: Header=BB7_130 Depth=1
	v_cvt_i32_f32_e32 v15, v16
; %bb.145:                              ;   in Loop: Header=BB7_130 Depth=1
	s_or_b64 exec, exec, s[4:5]
.LBB7_146:                              ;   in Loop: Header=BB7_130 Depth=1
	s_or_b64 exec, exec, s[2:3]
	s_waitcnt vmcnt(2)
	v_mul_f32_e32 v9, v22, v9
	v_rndne_f32_e32 v25, v9
	v_cmp_nle_f32_e32 vcc, s9, v25
	v_bfrev_b32_e32 v16, -2
	v_bfrev_b32_e32 v9, -2
	s_and_saveexec_b64 s[2:3], vcc
	s_cbranch_execz .LBB7_150
; %bb.147:                              ;   in Loop: Header=BB7_130 Depth=1
	v_cmp_nge_f32_e32 vcc, s10, v25
	v_bfrev_b32_e32 v9, 1
	s_and_saveexec_b64 s[4:5], vcc
; %bb.148:                              ;   in Loop: Header=BB7_130 Depth=1
	v_cvt_i32_f32_e32 v9, v25
; %bb.149:                              ;   in Loop: Header=BB7_130 Depth=1
	s_or_b64 exec, exec, s[4:5]
.LBB7_150:                              ;   in Loop: Header=BB7_130 Depth=1
	s_or_b64 exec, exec, s[2:3]
	v_mul_f32_e32 v10, v22, v10
	v_rndne_f32_e32 v10, v10
	v_cmp_nle_f32_e32 vcc, s9, v10
	s_and_saveexec_b64 s[2:3], vcc
	s_cbranch_execz .LBB7_154
; %bb.151:                              ;   in Loop: Header=BB7_130 Depth=1
	v_cmp_nge_f32_e32 vcc, s10, v10
	v_bfrev_b32_e32 v16, 1
	s_and_saveexec_b64 s[4:5], vcc
; %bb.152:                              ;   in Loop: Header=BB7_130 Depth=1
	v_cvt_i32_f32_e32 v16, v10
; %bb.153:                              ;   in Loop: Header=BB7_130 Depth=1
	s_or_b64 exec, exec, s[4:5]
.LBB7_154:                              ;   in Loop: Header=BB7_130 Depth=1
	s_or_b64 exec, exec, s[2:3]
	v_mul_f32_e32 v10, v22, v11
	v_rndne_f32_e32 v25, v10
	v_cmp_nle_f32_e32 vcc, s9, v25
	v_bfrev_b32_e32 v11, -2
	v_bfrev_b32_e32 v10, -2
	s_and_saveexec_b64 s[2:3], vcc
	s_cbranch_execz .LBB7_158
; %bb.155:                              ;   in Loop: Header=BB7_130 Depth=1
	v_cmp_nge_f32_e32 vcc, s10, v25
	v_bfrev_b32_e32 v10, 1
	s_and_saveexec_b64 s[4:5], vcc
; %bb.156:                              ;   in Loop: Header=BB7_130 Depth=1
	v_cvt_i32_f32_e32 v10, v25
; %bb.157:                              ;   in Loop: Header=BB7_130 Depth=1
	s_or_b64 exec, exec, s[4:5]
.LBB7_158:                              ;   in Loop: Header=BB7_130 Depth=1
	s_or_b64 exec, exec, s[2:3]
	v_mul_f32_e32 v12, v22, v12
	v_rndne_f32_e32 v12, v12
	v_cmp_nle_f32_e32 vcc, s9, v12
	s_and_saveexec_b64 s[2:3], vcc
	s_cbranch_execz .LBB7_162
; %bb.159:                              ;   in Loop: Header=BB7_130 Depth=1
	v_cmp_nge_f32_e32 vcc, s10, v12
	v_bfrev_b32_e32 v11, 1
	s_and_saveexec_b64 s[4:5], vcc
; %bb.160:                              ;   in Loop: Header=BB7_130 Depth=1
	v_cvt_i32_f32_e32 v11, v12
; %bb.161:                              ;   in Loop: Header=BB7_130 Depth=1
	s_or_b64 exec, exec, s[4:5]
.LBB7_162:                              ;   in Loop: Header=BB7_130 Depth=1
	s_or_b64 exec, exec, s[2:3]
	s_waitcnt vmcnt(0)
	v_mul_f32_e32 v5, v22, v5
	v_rndne_f32_e32 v25, v5
	v_cmp_nle_f32_e32 vcc, s9, v25
	v_bfrev_b32_e32 v12, -2
	v_bfrev_b32_e32 v5, -2
	s_and_saveexec_b64 s[2:3], vcc
	s_cbranch_execz .LBB7_166
; %bb.163:                              ;   in Loop: Header=BB7_130 Depth=1
	v_cmp_nge_f32_e32 vcc, s10, v25
	v_bfrev_b32_e32 v5, 1
	s_and_saveexec_b64 s[4:5], vcc
; %bb.164:                              ;   in Loop: Header=BB7_130 Depth=1
	v_cvt_i32_f32_e32 v5, v25
; %bb.165:                              ;   in Loop: Header=BB7_130 Depth=1
	s_or_b64 exec, exec, s[4:5]
.LBB7_166:                              ;   in Loop: Header=BB7_130 Depth=1
	s_or_b64 exec, exec, s[2:3]
	v_mul_f32_e32 v6, v22, v6
	v_rndne_f32_e32 v6, v6
	v_cmp_nle_f32_e32 vcc, s9, v6
	s_and_saveexec_b64 s[2:3], vcc
	s_cbranch_execz .LBB7_170
; %bb.167:                              ;   in Loop: Header=BB7_130 Depth=1
	v_cmp_nge_f32_e32 vcc, s10, v6
	v_bfrev_b32_e32 v12, 1
	s_and_saveexec_b64 s[4:5], vcc
; %bb.168:                              ;   in Loop: Header=BB7_130 Depth=1
	v_cvt_i32_f32_e32 v12, v6
; %bb.169:                              ;   in Loop: Header=BB7_130 Depth=1
	s_or_b64 exec, exec, s[4:5]
.LBB7_170:                              ;   in Loop: Header=BB7_130 Depth=1
	s_or_b64 exec, exec, s[2:3]
	v_mul_f32_e32 v6, v22, v7
	v_rndne_f32_e32 v25, v6
	v_cmp_nle_f32_e32 vcc, s9, v25
	v_bfrev_b32_e32 v7, -2
	v_bfrev_b32_e32 v6, -2
	s_and_saveexec_b64 s[2:3], vcc
	s_cbranch_execz .LBB7_174
; %bb.171:                              ;   in Loop: Header=BB7_130 Depth=1
	v_cmp_nge_f32_e32 vcc, s10, v25
	v_bfrev_b32_e32 v6, 1
	s_and_saveexec_b64 s[4:5], vcc
; %bb.172:                              ;   in Loop: Header=BB7_130 Depth=1
	v_cvt_i32_f32_e32 v6, v25
; %bb.173:                              ;   in Loop: Header=BB7_130 Depth=1
	s_or_b64 exec, exec, s[4:5]
.LBB7_174:                              ;   in Loop: Header=BB7_130 Depth=1
	s_or_b64 exec, exec, s[2:3]
	v_mul_f32_e32 v8, v22, v8
	v_rndne_f32_e32 v8, v8
	v_cmp_nle_f32_e32 vcc, s9, v8
	s_and_saveexec_b64 s[2:3], vcc
	s_cbranch_execz .LBB7_178
; %bb.175:                              ;   in Loop: Header=BB7_130 Depth=1
	v_cmp_nge_f32_e32 vcc, s10, v8
	v_bfrev_b32_e32 v7, 1
	s_and_saveexec_b64 s[4:5], vcc
; %bb.176:                              ;   in Loop: Header=BB7_130 Depth=1
	v_cvt_i32_f32_e32 v7, v8
; %bb.177:                              ;   in Loop: Header=BB7_130 Depth=1
	s_or_b64 exec, exec, s[4:5]
.LBB7_178:                              ;   in Loop: Header=BB7_130 Depth=1
	s_or_b64 exec, exec, s[2:3]
	;; [unrolled: 32-line block ×3, first 2 shown]
	v_mul_f32_e32 v2, v22, v3
	v_rndne_f32_e32 v25, v2
	v_cmp_nle_f32_e32 vcc, s9, v25
	v_bfrev_b32_e32 v2, -2
	v_bfrev_b32_e32 v3, -2
	s_and_saveexec_b64 s[2:3], vcc
	s_cbranch_execz .LBB7_190
; %bb.187:                              ;   in Loop: Header=BB7_130 Depth=1
	v_cmp_nge_f32_e32 vcc, s10, v25
	v_bfrev_b32_e32 v3, 1
	s_and_saveexec_b64 s[4:5], vcc
; %bb.188:                              ;   in Loop: Header=BB7_130 Depth=1
	v_cvt_i32_f32_e32 v3, v25
; %bb.189:                              ;   in Loop: Header=BB7_130 Depth=1
	s_or_b64 exec, exec, s[4:5]
.LBB7_190:                              ;   in Loop: Header=BB7_130 Depth=1
	s_or_b64 exec, exec, s[2:3]
	v_mul_f32_e32 v4, v22, v4
	v_rndne_f32_e32 v4, v4
	v_cmp_nle_f32_e32 vcc, s9, v4
	s_and_saveexec_b64 s[2:3], vcc
	s_cbranch_execz .LBB7_129
; %bb.191:                              ;   in Loop: Header=BB7_130 Depth=1
	v_cmp_nge_f32_e32 vcc, s10, v4
	v_bfrev_b32_e32 v2, 1
	s_and_saveexec_b64 s[4:5], vcc
	s_cbranch_execz .LBB7_128
; %bb.192:                              ;   in Loop: Header=BB7_130 Depth=1
	v_cvt_i32_f32_e32 v2, v4
	s_branch .LBB7_128
.LBB7_193:
	s_endpgm
	.section	.rodata,"a",@progbits
	.p2align	6, 0x0
	.amdhsa_kernel _ZN4vllm36dynamic_scaled_int8_azp_quant_kernelIffiEEvPKT_PaPT0_PT1_i
		.amdhsa_group_segment_fixed_size 40
		.amdhsa_private_segment_fixed_size 0
		.amdhsa_kernarg_size 296
		.amdhsa_user_sgpr_count 6
		.amdhsa_user_sgpr_private_segment_buffer 1
		.amdhsa_user_sgpr_dispatch_ptr 0
		.amdhsa_user_sgpr_queue_ptr 0
		.amdhsa_user_sgpr_kernarg_segment_ptr 1
		.amdhsa_user_sgpr_dispatch_id 0
		.amdhsa_user_sgpr_flat_scratch_init 0
		.amdhsa_user_sgpr_private_segment_size 0
		.amdhsa_uses_dynamic_stack 0
		.amdhsa_system_sgpr_private_segment_wavefront_offset 0
		.amdhsa_system_sgpr_workgroup_id_x 1
		.amdhsa_system_sgpr_workgroup_id_y 0
		.amdhsa_system_sgpr_workgroup_id_z 0
		.amdhsa_system_sgpr_workgroup_info 0
		.amdhsa_system_vgpr_workitem_id 0
		.amdhsa_next_free_vgpr 27
		.amdhsa_next_free_sgpr 28
		.amdhsa_reserve_vcc 1
		.amdhsa_reserve_flat_scratch 0
		.amdhsa_float_round_mode_32 0
		.amdhsa_float_round_mode_16_64 0
		.amdhsa_float_denorm_mode_32 3
		.amdhsa_float_denorm_mode_16_64 3
		.amdhsa_dx10_clamp 1
		.amdhsa_ieee_mode 1
		.amdhsa_fp16_overflow 0
		.amdhsa_exception_fp_ieee_invalid_op 0
		.amdhsa_exception_fp_denorm_src 0
		.amdhsa_exception_fp_ieee_div_zero 0
		.amdhsa_exception_fp_ieee_overflow 0
		.amdhsa_exception_fp_ieee_underflow 0
		.amdhsa_exception_fp_ieee_inexact 0
		.amdhsa_exception_int_div_zero 0
	.end_amdhsa_kernel
	.section	.text._ZN4vllm36dynamic_scaled_int8_azp_quant_kernelIffiEEvPKT_PaPT0_PT1_i,"axG",@progbits,_ZN4vllm36dynamic_scaled_int8_azp_quant_kernelIffiEEvPKT_PaPT0_PT1_i,comdat
.Lfunc_end7:
	.size	_ZN4vllm36dynamic_scaled_int8_azp_quant_kernelIffiEEvPKT_PaPT0_PT1_i, .Lfunc_end7-_ZN4vllm36dynamic_scaled_int8_azp_quant_kernelIffiEEvPKT_PaPT0_PT1_i
                                        ; -- End function
	.set _ZN4vllm36dynamic_scaled_int8_azp_quant_kernelIffiEEvPKT_PaPT0_PT1_i.num_vgpr, 27
	.set _ZN4vllm36dynamic_scaled_int8_azp_quant_kernelIffiEEvPKT_PaPT0_PT1_i.num_agpr, 0
	.set _ZN4vllm36dynamic_scaled_int8_azp_quant_kernelIffiEEvPKT_PaPT0_PT1_i.numbered_sgpr, 28
	.set _ZN4vllm36dynamic_scaled_int8_azp_quant_kernelIffiEEvPKT_PaPT0_PT1_i.num_named_barrier, 0
	.set _ZN4vllm36dynamic_scaled_int8_azp_quant_kernelIffiEEvPKT_PaPT0_PT1_i.private_seg_size, 0
	.set _ZN4vllm36dynamic_scaled_int8_azp_quant_kernelIffiEEvPKT_PaPT0_PT1_i.uses_vcc, 1
	.set _ZN4vllm36dynamic_scaled_int8_azp_quant_kernelIffiEEvPKT_PaPT0_PT1_i.uses_flat_scratch, 0
	.set _ZN4vllm36dynamic_scaled_int8_azp_quant_kernelIffiEEvPKT_PaPT0_PT1_i.has_dyn_sized_stack, 0
	.set _ZN4vllm36dynamic_scaled_int8_azp_quant_kernelIffiEEvPKT_PaPT0_PT1_i.has_recursion, 0
	.set _ZN4vllm36dynamic_scaled_int8_azp_quant_kernelIffiEEvPKT_PaPT0_PT1_i.has_indirect_call, 0
	.section	.AMDGPU.csdata,"",@progbits
; Kernel info:
; codeLenInByte = 5376
; TotalNumSgprs: 32
; NumVgprs: 27
; ScratchSize: 0
; MemoryBound: 1
; FloatMode: 240
; IeeeMode: 1
; LDSByteSize: 40 bytes/workgroup (compile time only)
; SGPRBlocks: 3
; VGPRBlocks: 6
; NumSGPRsForWavesPerEU: 32
; NumVGPRsForWavesPerEU: 27
; Occupancy: 9
; WaveLimiterHint : 0
; COMPUTE_PGM_RSRC2:SCRATCH_EN: 0
; COMPUTE_PGM_RSRC2:USER_SGPR: 6
; COMPUTE_PGM_RSRC2:TRAP_HANDLER: 0
; COMPUTE_PGM_RSRC2:TGID_X_EN: 1
; COMPUTE_PGM_RSRC2:TGID_Y_EN: 0
; COMPUTE_PGM_RSRC2:TGID_Z_EN: 0
; COMPUTE_PGM_RSRC2:TIDIG_COMP_CNT: 0
	.section	.text._ZN4vllm32dynamic_scaled_int8_quant_kernelIN3c104HalfEfEEvPKT_PaPT0_i,"axG",@progbits,_ZN4vllm32dynamic_scaled_int8_quant_kernelIN3c104HalfEfEEvPKT_PaPT0_i,comdat
	.protected	_ZN4vllm32dynamic_scaled_int8_quant_kernelIN3c104HalfEfEEvPKT_PaPT0_i ; -- Begin function _ZN4vllm32dynamic_scaled_int8_quant_kernelIN3c104HalfEfEEvPKT_PaPT0_i
	.globl	_ZN4vllm32dynamic_scaled_int8_quant_kernelIN3c104HalfEfEEvPKT_PaPT0_i
	.p2align	8
	.type	_ZN4vllm32dynamic_scaled_int8_quant_kernelIN3c104HalfEfEEvPKT_PaPT0_i,@function
_ZN4vllm32dynamic_scaled_int8_quant_kernelIN3c104HalfEfEEvPKT_PaPT0_i: ; @_ZN4vllm32dynamic_scaled_int8_quant_kernelIN3c104HalfEfEEvPKT_PaPT0_i
; %bb.0:
	s_load_dword s50, s[4:5], 0x18
	s_load_dword s0, s[4:5], 0x2c
	s_load_dwordx2 s[34:35], s[4:5], 0x0
	s_mov_b32 s15, 0
	s_waitcnt lgkmcnt(0)
	s_ashr_i32 s1, s50, 31
	s_and_b32 s33, s0, 0xffff
	s_mul_hi_u32 s0, s50, s6
	s_mul_i32 s1, s1, s6
	s_add_i32 s39, s0, s1
	s_mul_i32 s38, s50, s6
	s_lshl_b64 s[36:37], s[38:39], 1
	s_add_u32 s51, s34, s36
	s_addc_u32 s52, s35, s37
	s_and_b32 s14, s51, 31
	s_cmp_lg_u64 s[14:15], 0
	s_cselect_b64 s[0:1], -1, 0
	s_and_b32 s2, s50, 15
	s_cmp_lg_u32 s2, 0
	s_cselect_b64 s[2:3], -1, 0
	s_or_b64 s[12:13], s[2:3], s[0:1]
	s_and_b64 vcc, exec, s[12:13]
	s_cbranch_vccz .LBB8_14
; %bb.1:
	s_sub_i32 s0, 0, s51
	s_bfe_u32 s0, s0, 0x40001
	s_min_i32 s0, s0, s50
	v_cmp_gt_i32_e32 vcc, s0, v0
	v_mov_b32_e32 v4, 0
	s_and_saveexec_b64 s[2:3], vcc
	s_cbranch_execz .LBB8_5
; %bb.2:
	s_add_u32 s1, s34, s36
	v_lshlrev_b32_e32 v1, 1, v0
	s_addc_u32 s7, s35, s37
	v_mov_b32_e32 v2, s7
	v_add_co_u32_e32 v1, vcc, s1, v1
	v_mov_b32_e32 v4, 0
	v_addc_co_u32_e32 v2, vcc, 0, v2, vcc
	s_lshl_b32 s1, s33, 1
	s_mov_b64 s[8:9], 0
	v_mov_b32_e32 v3, v0
.LBB8_3:                                ; =>This Inner Loop Header: Depth=1
	global_load_ushort v5, v[1:2], off
	v_add_co_u32_e32 v1, vcc, s1, v1
	v_add_u32_e32 v3, s33, v3
	v_addc_co_u32_e32 v2, vcc, 0, v2, vcc
	v_max_f32_e32 v4, v4, v4
	v_cmp_le_i32_e32 vcc, s0, v3
	s_or_b64 s[8:9], vcc, s[8:9]
	s_waitcnt vmcnt(0)
	v_cvt_f32_f16_e64 v5, |v5|
	v_max_f32_e32 v4, v4, v5
	s_andn2_b64 exec, exec, s[8:9]
	s_cbranch_execnz .LBB8_3
; %bb.4:
	s_or_b64 exec, exec, s[8:9]
.LBB8_5:
	s_or_b64 exec, exec, s[2:3]
	s_sub_i32 s7, s50, s0
	s_ashr_i32 s2, s7, 31
	s_lshr_b32 s2, s2, 28
	s_add_i32 s2, s7, s2
	s_ashr_i32 s10, s2, 4
	s_ashr_i32 s1, s0, 31
	v_cmp_gt_i32_e32 vcc, s10, v0
	s_and_saveexec_b64 s[2:3], vcc
	s_cbranch_execz .LBB8_9
; %bb.6:
	s_lshl_b64 s[8:9], s[0:1], 1
	s_add_u32 s8, s34, s8
	s_addc_u32 s9, s35, s9
	s_add_u32 s8, s8, s36
	v_lshlrev_b32_e32 v1, 5, v0
	s_addc_u32 s9, s9, s37
	v_mov_b32_e32 v2, s9
	v_add_co_u32_e32 v1, vcc, s8, v1
	v_addc_co_u32_e32 v2, vcc, 0, v2, vcc
	s_lshl_b32 s11, s33, 5
	s_mov_b64 s[8:9], 0
	v_mov_b32_e32 v3, v0
.LBB8_7:                                ; =>This Inner Loop Header: Depth=1
	global_load_dwordx4 v[5:8], v[1:2], off
	global_load_dwordx4 v[9:12], v[1:2], off offset:16
	v_add_co_u32_e32 v1, vcc, s11, v1
	v_add_u32_e32 v3, s33, v3
	v_addc_co_u32_e32 v2, vcc, 0, v2, vcc
	v_cmp_le_i32_e32 vcc, s10, v3
	s_or_b64 s[8:9], vcc, s[8:9]
	s_waitcnt vmcnt(1)
	v_cvt_f32_f16_e64 v13, |v5|
	v_cvt_f32_f16_sdwa v5, |v5| dst_sel:DWORD dst_unused:UNUSED_PAD src0_sel:WORD_1
	v_cvt_f32_f16_e64 v14, |v6|
	v_cvt_f32_f16_sdwa v6, |v6| dst_sel:DWORD dst_unused:UNUSED_PAD src0_sel:WORD_1
	;; [unrolled: 2-line block ×4, first 2 shown]
	s_waitcnt vmcnt(0)
	v_cvt_f32_f16_e64 v17, |v9|
	v_cvt_f32_f16_sdwa v9, |v9| dst_sel:DWORD dst_unused:UNUSED_PAD src0_sel:WORD_1
	v_max3_f32 v4, v4, v13, v5
	v_cvt_f32_f16_e64 v18, |v10|
	v_cvt_f32_f16_sdwa v10, |v10| dst_sel:DWORD dst_unused:UNUSED_PAD src0_sel:WORD_1
	v_max3_f32 v4, v4, v14, v6
	;; [unrolled: 3-line block ×4, first 2 shown]
	v_max3_f32 v4, v4, v17, v9
	v_max3_f32 v4, v4, v18, v10
	;; [unrolled: 1-line block ×4, first 2 shown]
	s_andn2_b64 exec, exec, s[8:9]
	s_cbranch_execnz .LBB8_7
; %bb.8:
	s_or_b64 exec, exec, s[8:9]
.LBB8_9:
	s_or_b64 exec, exec, s[2:3]
	v_lshl_add_u32 v1, s10, 4, v0
	v_cmp_gt_i32_e32 vcc, s7, v1
	s_and_saveexec_b64 s[2:3], vcc
	s_cbranch_execz .LBB8_13
; %bb.10:
	s_lshl_b64 s[0:1], s[0:1], 1
	s_add_u32 s0, s36, s0
	s_addc_u32 s1, s37, s1
	v_ashrrev_i32_e32 v2, 31, v1
	v_lshlrev_b64 v[2:3], 1, v[1:2]
	s_add_u32 s0, s34, s0
	s_addc_u32 s1, s35, s1
	v_mov_b32_e32 v5, s1
	v_add_co_u32_e32 v2, vcc, s0, v2
	v_addc_co_u32_e32 v3, vcc, v5, v3, vcc
	s_lshl_b32 s8, s33, 1
	s_mov_b64 s[0:1], 0
.LBB8_11:                               ; =>This Inner Loop Header: Depth=1
	global_load_ushort v5, v[2:3], off
	v_add_co_u32_e32 v2, vcc, s8, v2
	v_add_u32_e32 v1, s33, v1
	v_addc_co_u32_e32 v3, vcc, 0, v3, vcc
	v_max_f32_e32 v4, v4, v4
	v_cmp_le_i32_e32 vcc, s7, v1
	s_or_b64 s[0:1], vcc, s[0:1]
	s_waitcnt vmcnt(0)
	v_cvt_f32_f16_e64 v5, |v5|
	v_max_f32_e32 v4, v4, v5
	s_andn2_b64 exec, exec, s[0:1]
	s_cbranch_execnz .LBB8_11
; %bb.12:
	s_or_b64 exec, exec, s[0:1]
.LBB8_13:
	s_or_b64 exec, exec, s[2:3]
	s_branch .LBB8_20
.LBB8_14:
                                        ; implicit-def: $vgpr4
	s_cbranch_execz .LBB8_20
; %bb.15:
	s_ashr_i32 s7, s50, 4
	v_cmp_gt_i32_e32 vcc, s7, v0
	v_mov_b32_e32 v4, 0
	s_and_saveexec_b64 s[0:1], vcc
	s_cbranch_execz .LBB8_19
; %bb.16:
	s_add_u32 s2, s34, s36
	v_lshlrev_b32_e32 v1, 5, v0
	s_addc_u32 s3, s35, s37
	v_mov_b32_e32 v2, s3
	v_add_co_u32_e32 v1, vcc, s2, v1
	v_mov_b32_e32 v4, 0
	v_addc_co_u32_e32 v2, vcc, 0, v2, vcc
	s_lshl_b32 s8, s33, 5
	s_mov_b64 s[2:3], 0
	v_mov_b32_e32 v3, v0
.LBB8_17:                               ; =>This Inner Loop Header: Depth=1
	global_load_dwordx4 v[5:8], v[1:2], off
	global_load_dwordx4 v[9:12], v[1:2], off offset:16
	v_add_co_u32_e32 v1, vcc, s8, v1
	v_add_u32_e32 v3, s33, v3
	v_addc_co_u32_e32 v2, vcc, 0, v2, vcc
	v_cmp_le_i32_e32 vcc, s7, v3
	s_or_b64 s[2:3], vcc, s[2:3]
	s_waitcnt vmcnt(1)
	v_cvt_f32_f16_e64 v13, |v5|
	v_cvt_f32_f16_sdwa v5, |v5| dst_sel:DWORD dst_unused:UNUSED_PAD src0_sel:WORD_1
	v_cvt_f32_f16_e64 v14, |v6|
	v_cvt_f32_f16_sdwa v6, |v6| dst_sel:DWORD dst_unused:UNUSED_PAD src0_sel:WORD_1
	;; [unrolled: 2-line block ×4, first 2 shown]
	s_waitcnt vmcnt(0)
	v_cvt_f32_f16_e64 v17, |v9|
	v_cvt_f32_f16_sdwa v9, |v9| dst_sel:DWORD dst_unused:UNUSED_PAD src0_sel:WORD_1
	v_max3_f32 v4, v4, v13, v5
	v_cvt_f32_f16_e64 v18, |v10|
	v_cvt_f32_f16_sdwa v10, |v10| dst_sel:DWORD dst_unused:UNUSED_PAD src0_sel:WORD_1
	v_max3_f32 v4, v4, v14, v6
	;; [unrolled: 3-line block ×4, first 2 shown]
	v_max3_f32 v4, v4, v17, v9
	v_max3_f32 v4, v4, v18, v10
	;; [unrolled: 1-line block ×4, first 2 shown]
	s_andn2_b64 exec, exec, s[2:3]
	s_cbranch_execnz .LBB8_17
; %bb.18:
	s_or_b64 exec, exec, s[2:3]
.LBB8_19:
	s_or_b64 exec, exec, s[0:1]
.LBB8_20:
	v_mbcnt_lo_u32_b32 v1, -1, 0
	v_mbcnt_hi_u32_b32 v1, -1, v1
	v_and_b32_e32 v2, 63, v1
	v_cmp_ne_u32_e32 vcc, 63, v2
	v_addc_co_u32_e32 v3, vcc, 0, v1, vcc
	v_lshlrev_b32_e32 v3, 2, v3
	ds_bpermute_b32 v3, v3, v4
	v_and_b32_e32 v5, 0x3c0, v0
	v_sub_u32_e64 v5, s33, v5 clamp
	v_add_u32_e32 v6, 1, v1
	v_cmp_gt_u32_e64 s[0:1], 62, v2
	s_waitcnt lgkmcnt(0)
	v_cmp_lt_f32_e32 vcc, v4, v3
	v_cndmask_b32_e32 v3, v4, v3, vcc
	v_cmp_lt_u32_e32 vcc, v6, v5
	v_cndmask_b32_e64 v6, 0, 2, s[0:1]
	v_cndmask_b32_e32 v3, v4, v3, vcc
	v_add_lshl_u32 v6, v6, v1, 2
	ds_bpermute_b32 v6, v6, v3
	v_add_u32_e32 v7, 2, v1
	v_cmp_gt_u32_e64 s[2:3], 60, v2
	v_cmp_gt_u32_e64 s[8:9], 56, v2
	;; [unrolled: 1-line block ×3, first 2 shown]
	s_waitcnt lgkmcnt(0)
	v_cmp_lt_f32_e64 s[0:1], v3, v6
	v_cndmask_b32_e64 v6, v3, v6, s[0:1]
	v_cmp_lt_u32_e64 s[0:1], v7, v5
	v_cndmask_b32_e64 v3, v3, v6, s[0:1]
	v_cndmask_b32_e64 v6, 0, 4, s[2:3]
	v_add_lshl_u32 v6, v6, v1, 2
	ds_bpermute_b32 v6, v6, v3
	v_add_u32_e32 v7, 4, v1
	v_cndmask_b32_e64 v2, 0, 16, s[10:11]
	v_add_lshl_u32 v2, v2, v1, 2
	s_or_b64 s[0:1], vcc, s[0:1]
	s_waitcnt lgkmcnt(0)
	v_cmp_lt_f32_e64 s[2:3], v3, v6
	v_cndmask_b32_e64 v6, v3, v6, s[2:3]
	v_cmp_lt_u32_e64 s[2:3], v7, v5
	v_cndmask_b32_e64 v3, v3, v6, s[2:3]
	v_cndmask_b32_e64 v6, 0, 8, s[8:9]
	v_add_lshl_u32 v6, v6, v1, 2
	ds_bpermute_b32 v6, v6, v3
	v_add_u32_e32 v7, 8, v1
	s_or_b64 s[0:1], s[2:3], s[0:1]
	s_waitcnt lgkmcnt(0)
	v_cmp_lt_f32_e64 s[8:9], v3, v6
	v_cndmask_b32_e64 v6, v3, v6, s[8:9]
	v_cmp_lt_u32_e64 s[8:9], v7, v5
	v_cndmask_b32_e64 v3, v3, v6, s[8:9]
	ds_bpermute_b32 v2, v2, v3
	v_add_u32_e32 v6, 16, v1
	s_or_b64 s[0:1], s[8:9], s[0:1]
	v_add_u32_e32 v7, 32, v1
	s_waitcnt lgkmcnt(0)
	v_cmp_lt_f32_e32 vcc, v3, v2
	v_cndmask_b32_e32 v2, v3, v2, vcc
	v_cmp_lt_u32_e32 vcc, v6, v5
	v_cndmask_b32_e32 v2, v3, v2, vcc
	v_lshlrev_b32_e32 v3, 2, v1
	v_or_b32_e32 v6, 0x80, v3
	ds_bpermute_b32 v6, v6, v2
	s_or_b64 s[2:3], vcc, s[0:1]
	v_cmp_lt_u32_e32 vcc, v7, v5
	s_waitcnt lgkmcnt(0)
	v_cmp_lt_f32_e64 s[0:1], v2, v6
	s_and_b64 s[0:1], vcc, s[0:1]
	v_cndmask_b32_e64 v2, v2, v6, s[0:1]
	s_or_b64 vcc, vcc, s[2:3]
	v_cndmask_b32_e32 v2, v4, v2, vcc
	v_cmp_eq_u32_e32 vcc, 0, v1
	s_and_saveexec_b64 s[0:1], vcc
; %bb.21:
	v_lshrrev_b32_e32 v4, 4, v0
	v_and_b32_e32 v4, 60, v4
	ds_write_b32 v4, v2
; %bb.22:
	s_or_b64 exec, exec, s[0:1]
	v_cmp_gt_u32_e32 vcc, 4, v0
	s_waitcnt lgkmcnt(0)
	s_barrier
	s_and_saveexec_b64 s[8:9], vcc
	s_cbranch_execz .LBB8_24
; %bb.23:
	ds_read_b32 v2, v3
	v_and_b32_e32 v4, 3, v1
	v_cmp_ne_u32_e32 vcc, 3, v4
	v_addc_co_u32_e32 v1, vcc, 0, v1, vcc
	v_lshlrev_b32_e32 v1, 2, v1
	s_waitcnt lgkmcnt(0)
	ds_bpermute_b32 v1, v1, v2
	s_add_i32 s0, s33, 63
	s_lshr_b32 s0, s0, 6
	v_add_u32_e32 v5, 1, v4
	v_or_b32_e32 v3, 8, v3
	s_waitcnt lgkmcnt(0)
	v_cmp_lt_f32_e32 vcc, v2, v1
	v_cndmask_b32_e32 v1, v2, v1, vcc
	v_cmp_gt_u32_e32 vcc, s0, v5
	v_cndmask_b32_e32 v5, v2, v1, vcc
	ds_bpermute_b32 v3, v3, v5
	v_add_u32_e32 v4, 2, v4
	v_cmp_gt_u32_e64 s[0:1], s0, v4
	s_waitcnt lgkmcnt(0)
	v_cmp_lt_f32_e64 s[2:3], v1, v3
	s_and_b64 s[0:1], s[0:1], s[2:3]
	v_cndmask_b32_e64 v1, v1, v3, s[0:1]
	v_cndmask_b32_e32 v2, v2, v1, vcc
.LBB8_24:
	s_or_b64 exec, exec, s[8:9]
	s_load_dwordx2 s[40:41], s[4:5], 0x8
	v_cmp_eq_u32_e32 vcc, 0, v0
	s_and_saveexec_b64 s[0:1], vcc
	s_cbranch_execz .LBB8_26
; %bb.25:
	s_mov_b32 s8, 0x42fe0000
	v_div_scale_f32 v1, s[2:3], s8, s8, v2
	v_div_scale_f32 v3, vcc, v2, s8, v2
	s_load_dwordx2 s[2:3], s[4:5], 0x10
	s_mov_b32 s7, s15
	s_lshl_b64 s[4:5], s[6:7], 2
	s_waitcnt lgkmcnt(0)
	s_add_u32 s2, s2, s4
	s_addc_u32 s3, s3, s5
	v_rcp_f32_e32 v4, v1
	v_fma_f32 v5, -v1, v4, 1.0
	v_fmac_f32_e32 v4, v5, v4
	v_mul_f32_e32 v5, v3, v4
	v_fma_f32 v6, -v1, v5, v3
	v_fmac_f32_e32 v5, v6, v4
	v_fma_f32 v1, -v1, v5, v3
	v_div_fmas_f32 v1, v1, v4, v5
	v_mov_b32_e32 v3, 0
	ds_write_b32 v3, v2 offset:16
	v_div_fixup_f32 v1, v1, s8, v2
	global_store_dword v3, v1, s[2:3]
.LBB8_26:
	s_or_b64 exec, exec, s[0:1]
	v_mov_b32_e32 v1, 0
	s_waitcnt vmcnt(0) lgkmcnt(0)
	s_barrier
	ds_read_b32 v1, v1 offset:16
	s_mov_b32 s4, 0x42fe0000
	s_mov_b64 s[2:3], -1
	s_waitcnt lgkmcnt(0)
	v_div_scale_f32 v2, s[0:1], v1, v1, s4
	v_div_scale_f32 v3, vcc, s4, v1, s4
	v_cmp_neq_f32_e64 s[0:1], 0, v1
	v_rcp_f32_e32 v4, v2
	v_fma_f32 v5, -v2, v4, 1.0
	v_fmac_f32_e32 v4, v5, v4
	v_mul_f32_e32 v5, v3, v4
	v_fma_f32 v6, -v2, v5, v3
	v_fmac_f32_e32 v5, v6, v4
	v_fma_f32 v2, -v2, v5, v3
	v_div_fmas_f32 v2, v2, v4, v5
	s_and_b64 vcc, exec, s[12:13]
	v_div_fixup_f32 v2, v2, v1, s4
	v_cndmask_b32_e64 v9, 0, v2, s[0:1]
	s_cbranch_vccz .LBB8_47
; %bb.27:
	s_add_u32 s44, s40, s38
	s_addc_u32 s45, s41, s39
	s_sub_i32 s0, 0, s51
	s_bfe_u32 s0, s0, 0x40001
	s_min_i32 s42, s0, s50
	v_cmp_gt_i32_e32 vcc, s42, v0
	s_and_saveexec_b64 s[2:3], vcc
	s_cbranch_execz .LBB8_35
; %bb.28:
	v_add_u32_e32 v1, 1, v0
	v_max_i32_e32 v1, s42, v1
	s_and_b32 s0, s33, 0xffff
	v_sub_u32_e32 v3, v1, v0
	s_cmp_eq_u32 s0, 1
	v_cmp_lt_u32_e32 vcc, 1, v3
	s_cselect_b64 s[0:1], -1, 0
	s_and_b64 s[6:7], vcc, s[0:1]
	s_mov_b64 s[4:5], -1
	v_mov_b32_e32 v1, v0
	s_and_saveexec_b64 s[0:1], s[6:7]
	s_cbranch_execz .LBB8_32
; %bb.29:
	v_and_b32_e32 v4, -2, v3
	s_mov_b64 s[4:5], 0
	v_mov_b32_e32 v2, 0
	v_mov_b32_e32 v5, s52
	s_mov_b32 s6, 0x42fe0000
	v_mov_b32_e32 v6, 0x42fe0000
	s_mov_b32 s7, 0xc3000000
	v_mov_b32_e32 v7, 0xc3000000
	v_mov_b32_e32 v1, v0
	;; [unrolled: 1-line block ×3, first 2 shown]
.LBB8_30:                               ; =>This Inner Loop Header: Depth=1
	v_lshlrev_b64 v[10:11], 1, v[1:2]
	v_add_u32_e32 v8, -2, v8
	v_add_co_u32_e32 v10, vcc, s51, v10
	v_addc_co_u32_e32 v11, vcc, v5, v11, vcc
	global_load_dword v10, v[10:11], off
	s_waitcnt vmcnt(0)
	v_cvt_f32_f16_e32 v11, v10
	v_cvt_f32_f16_sdwa v10, v10 dst_sel:DWORD dst_unused:UNUSED_PAD src0_sel:WORD_1
	v_mul_f32_e32 v11, v9, v11
	v_mul_f32_e32 v10, v9, v10
	v_rndne_f32_e32 v11, v11
	v_rndne_f32_e32 v10, v10
	v_cmp_nlt_f32_e32 vcc, s6, v11
	v_cndmask_b32_e32 v12, v6, v11, vcc
	v_cmp_nlt_f32_e32 vcc, s6, v10
	v_cndmask_b32_e32 v13, v6, v10, vcc
	v_cmp_ngt_f32_e32 vcc, s7, v10
	v_cndmask_b32_e32 v10, v7, v13, vcc
	v_cmp_ngt_f32_e32 vcc, s7, v11
	v_cndmask_b32_e32 v11, v7, v12, vcc
	v_cvt_i32_f32_e32 v11, v11
	v_cvt_i32_f32_sdwa v10, v10 dst_sel:BYTE_1 dst_unused:UNUSED_PAD src0_sel:DWORD
	v_cmp_eq_u32_e32 vcc, 0, v8
	s_or_b64 s[4:5], vcc, s[4:5]
	v_or_b32_sdwa v10, v11, v10 dst_sel:DWORD dst_unused:UNUSED_PAD src0_sel:BYTE_0 src1_sel:DWORD
	global_store_short v1, v10, s[44:45]
	v_add_u32_e32 v1, 2, v1
	s_andn2_b64 exec, exec, s[4:5]
	s_cbranch_execnz .LBB8_30
; %bb.31:
	s_or_b64 exec, exec, s[4:5]
	v_cmp_ne_u32_e32 vcc, v3, v4
	v_add_u32_e32 v1, v0, v4
	s_orn2_b64 s[4:5], vcc, exec
.LBB8_32:
	s_or_b64 exec, exec, s[0:1]
	s_and_b64 exec, exec, s[4:5]
	s_cbranch_execz .LBB8_35
; %bb.33:
	v_mov_b32_e32 v2, 0
	v_lshlrev_b64 v[3:4], 1, v[1:2]
	s_add_u32 s0, s34, s36
	s_addc_u32 s1, s35, s37
	v_mov_b32_e32 v5, s1
	v_add_co_u32_e32 v3, vcc, s0, v3
	v_addc_co_u32_e32 v4, vcc, v5, v4, vcc
	s_lshl_b32 s6, s33, 1
	s_mov_b64 s[4:5], 0
	v_mov_b32_e32 v5, s45
	s_mov_b32 s7, 0x42fe0000
	v_mov_b32_e32 v6, 0x42fe0000
	s_mov_b32 s8, 0xc3000000
	v_mov_b32_e32 v7, 0xc3000000
.LBB8_34:                               ; =>This Inner Loop Header: Depth=1
	global_load_ushort v8, v[3:4], off
	v_add_co_u32_e32 v10, vcc, s44, v1
	v_addc_co_u32_e32 v11, vcc, v5, v2, vcc
	v_add_co_u32_e32 v1, vcc, s33, v1
	v_addc_co_u32_e32 v2, vcc, 0, v2, vcc
	;; [unrolled: 2-line block ×3, first 2 shown]
	v_cmp_le_i32_e32 vcc, s42, v1
	s_or_b64 s[4:5], vcc, s[4:5]
	s_waitcnt vmcnt(0)
	v_cvt_f32_f16_e32 v8, v8
	v_mul_f32_e32 v8, v9, v8
	v_rndne_f32_e32 v8, v8
	v_cmp_nlt_f32_e64 s[0:1], s7, v8
	v_cndmask_b32_e64 v12, v6, v8, s[0:1]
	v_cmp_ngt_f32_e64 s[0:1], s8, v8
	v_cndmask_b32_e64 v8, v7, v12, s[0:1]
	v_cvt_i32_f32_e32 v8, v8
	global_store_byte v[10:11], v8, off
	s_andn2_b64 exec, exec, s[4:5]
	s_cbranch_execnz .LBB8_34
.LBB8_35:
	s_or_b64 exec, exec, s[2:3]
	s_sub_i32 s53, s50, s42
	s_ashr_i32 s0, s53, 31
	s_lshr_b32 s0, s0, 28
	s_add_i32 s0, s53, s0
	s_ashr_i32 s54, s0, 4
	s_ashr_i32 s43, s42, 31
	v_cmp_gt_i32_e32 vcc, s54, v0
	s_and_saveexec_b64 s[46:47], vcc
	s_cbranch_execz .LBB8_38
; %bb.36:
	s_add_u32 s0, s42, s38
	s_addc_u32 s1, s43, s39
	s_add_u32 s0, s40, s0
	v_lshlrev_b32_e32 v1, 4, v0
	s_addc_u32 s1, s41, s1
	v_mov_b32_e32 v2, s1
	v_add_co_u32_e32 v1, vcc, s0, v1
	s_lshl_b32 s55, s33, 4
	s_lshl_b64 s[0:1], s[42:43], 1
	s_add_u32 s0, s34, s0
	v_addc_co_u32_e32 v2, vcc, 0, v2, vcc
	s_addc_u32 s1, s35, s1
	v_add_co_u32_e32 v1, vcc, 7, v1
	s_add_u32 s0, s0, s36
	v_addc_co_u32_e32 v2, vcc, 0, v2, vcc
	v_lshlrev_b32_e32 v3, 5, v0
	s_addc_u32 s1, s1, s37
	v_mov_b32_e32 v4, s1
	v_add_co_u32_e32 v3, vcc, s0, v3
	v_addc_co_u32_e32 v4, vcc, 0, v4, vcc
	s_lshl_b32 s56, s33, 5
	s_mov_b64 s[48:49], 0
	s_mov_b32 s57, 0x42fe0000
	v_mov_b32_e32 v5, 0x42fe0000
	s_mov_b32 s58, 0xc3000000
	v_mov_b32_e32 v6, 0xc3000000
	v_mov_b32_e32 v7, v0
.LBB8_37:                               ; =>This Inner Loop Header: Depth=1
	global_load_dwordx4 v[10:13], v[3:4], off
	global_load_dwordx4 v[14:17], v[3:4], off offset:16
	v_add_co_u32_e64 v3, s[30:31], s56, v3
	v_add_u32_e32 v7, s33, v7
	v_addc_co_u32_e64 v4, s[30:31], 0, v4, s[30:31]
	v_cmp_le_i32_e64 s[30:31], s54, v7
	s_or_b64 s[48:49], s[30:31], s[48:49]
	s_waitcnt vmcnt(1)
	v_cvt_f32_f16_e32 v8, v10
	v_cvt_f32_f16_sdwa v10, v10 dst_sel:DWORD dst_unused:UNUSED_PAD src0_sel:WORD_1
	v_cvt_f32_f16_e32 v18, v11
	v_cvt_f32_f16_sdwa v11, v11 dst_sel:DWORD dst_unused:UNUSED_PAD src0_sel:WORD_1
	v_mul_f32_e32 v8, v9, v8
	v_rndne_f32_e32 v8, v8
	v_cmp_nlt_f32_e32 vcc, s57, v8
	v_cndmask_b32_e32 v25, v5, v8, vcc
	v_cmp_ngt_f32_e32 vcc, s58, v8
	v_mul_f32_e32 v8, v9, v10
	v_rndne_f32_e32 v8, v8
	v_cmp_nlt_f32_e64 s[0:1], s57, v8
	v_cndmask_b32_e64 v10, v5, v8, s[0:1]
	v_cmp_ngt_f32_e64 s[0:1], s58, v8
	v_mul_f32_e32 v8, v9, v18
	v_rndne_f32_e32 v8, v8
	v_cvt_f32_f16_e32 v19, v12
	v_cmp_nlt_f32_e64 s[2:3], s57, v8
	v_cndmask_b32_e64 v18, v5, v8, s[2:3]
	v_cmp_ngt_f32_e64 s[2:3], s58, v8
	v_mul_f32_e32 v8, v9, v11
	v_rndne_f32_e32 v8, v8
	v_cvt_f32_f16_sdwa v12, v12 dst_sel:DWORD dst_unused:UNUSED_PAD src0_sel:WORD_1
	v_cmp_nlt_f32_e64 s[4:5], s57, v8
	v_cndmask_b32_e64 v11, v5, v8, s[4:5]
	v_cmp_ngt_f32_e64 s[4:5], s58, v8
	v_mul_f32_e32 v8, v9, v19
	v_rndne_f32_e32 v8, v8
	v_cvt_f32_f16_e32 v20, v13
	v_cmp_nlt_f32_e64 s[6:7], s57, v8
	v_cndmask_b32_e64 v19, v5, v8, s[6:7]
	v_cmp_ngt_f32_e64 s[6:7], s58, v8
	v_mul_f32_e32 v8, v9, v12
	v_rndne_f32_e32 v8, v8
	v_cvt_f32_f16_sdwa v13, v13 dst_sel:DWORD dst_unused:UNUSED_PAD src0_sel:WORD_1
	v_cmp_nlt_f32_e64 s[8:9], s57, v8
	v_cndmask_b32_e64 v12, v5, v8, s[8:9]
	v_cmp_ngt_f32_e64 s[8:9], s58, v8
	v_mul_f32_e32 v8, v9, v20
	v_rndne_f32_e32 v8, v8
	s_waitcnt vmcnt(0)
	v_cvt_f32_f16_e32 v21, v14
	v_cmp_nlt_f32_e64 s[10:11], s57, v8
	v_cndmask_b32_e64 v20, v5, v8, s[10:11]
	v_cmp_ngt_f32_e64 s[10:11], s58, v8
	v_mul_f32_e32 v8, v9, v13
	v_rndne_f32_e32 v8, v8
	v_cvt_f32_f16_sdwa v14, v14 dst_sel:DWORD dst_unused:UNUSED_PAD src0_sel:WORD_1
	v_cmp_nlt_f32_e64 s[12:13], s57, v8
	v_cndmask_b32_e64 v13, v5, v8, s[12:13]
	v_cmp_ngt_f32_e64 s[12:13], s58, v8
	v_mul_f32_e32 v8, v9, v21
	v_rndne_f32_e32 v8, v8
	v_cvt_f32_f16_e32 v22, v15
	v_cmp_nlt_f32_e64 s[14:15], s57, v8
	v_cndmask_b32_e64 v21, v5, v8, s[14:15]
	v_cmp_ngt_f32_e64 s[14:15], s58, v8
	v_mul_f32_e32 v8, v9, v14
	v_rndne_f32_e32 v8, v8
	v_cvt_f32_f16_sdwa v15, v15 dst_sel:DWORD dst_unused:UNUSED_PAD src0_sel:WORD_1
	v_cmp_nlt_f32_e64 s[16:17], s57, v8
	v_cndmask_b32_e64 v14, v5, v8, s[16:17]
	v_cmp_ngt_f32_e64 s[16:17], s58, v8
	v_mul_f32_e32 v8, v9, v22
	v_rndne_f32_e32 v8, v8
	;; [unrolled: 12-line block ×4, first 2 shown]
	v_cmp_nlt_f32_e64 s[26:27], s57, v8
	v_cndmask_b32_e64 v24, v5, v8, s[26:27]
	v_cmp_ngt_f32_e64 s[26:27], s58, v8
	v_mul_f32_e32 v8, v9, v17
	v_rndne_f32_e32 v8, v8
	v_cmp_nlt_f32_e64 s[28:29], s57, v8
	v_cndmask_b32_e64 v17, v5, v8, s[28:29]
	v_cmp_ngt_f32_e64 s[28:29], s58, v8
	v_cndmask_b32_e32 v8, v6, v25, vcc
	v_cndmask_b32_e64 v10, v6, v10, s[0:1]
	v_cndmask_b32_e64 v18, v6, v18, s[2:3]
	;; [unrolled: 1-line block ×15, first 2 shown]
	v_cvt_i32_f32_e32 v8, v8
	v_cvt_i32_f32_sdwa v10, v10 dst_sel:BYTE_1 dst_unused:UNUSED_PAD src0_sel:DWORD
	v_cvt_i32_f32_e32 v18, v18
	v_cvt_i32_f32_sdwa v11, v11 dst_sel:BYTE_1 dst_unused:UNUSED_PAD src0_sel:DWORD
	;; [unrolled: 2-line block ×8, first 2 shown]
	v_or_b32_sdwa v16, v23, v16 dst_sel:DWORD dst_unused:UNUSED_PAD src0_sel:BYTE_0 src1_sel:DWORD
	v_or_b32_sdwa v17, v24, v17 dst_sel:WORD_1 dst_unused:UNUSED_PAD src0_sel:BYTE_0 src1_sel:DWORD
	v_or_b32_sdwa v14, v21, v14 dst_sel:DWORD dst_unused:UNUSED_PAD src0_sel:BYTE_0 src1_sel:DWORD
	v_or_b32_sdwa v15, v22, v15 dst_sel:WORD_1 dst_unused:UNUSED_PAD src0_sel:BYTE_0 src1_sel:DWORD
	;; [unrolled: 2-line block ×4, first 2 shown]
	v_or_b32_sdwa v13, v16, v17 dst_sel:DWORD dst_unused:UNUSED_PAD src0_sel:WORD_0 src1_sel:DWORD
	v_or_b32_sdwa v12, v14, v15 dst_sel:DWORD dst_unused:UNUSED_PAD src0_sel:WORD_0 src1_sel:DWORD
	;; [unrolled: 1-line block ×4, first 2 shown]
	global_store_dwordx4 v[1:2], v[10:13], off offset:-7
	v_add_co_u32_e32 v1, vcc, s55, v1
	v_addc_co_u32_e32 v2, vcc, 0, v2, vcc
	s_andn2_b64 exec, exec, s[48:49]
	s_cbranch_execnz .LBB8_37
.LBB8_38:
	s_or_b64 exec, exec, s[46:47]
	v_lshl_add_u32 v1, s54, 4, v0
	v_cmp_gt_i32_e32 vcc, s53, v1
	s_and_saveexec_b64 s[2:3], vcc
	s_cbranch_execz .LBB8_46
; %bb.39:
	s_add_u32 s6, s44, s42
	v_add_u32_e32 v2, 1, v1
	s_addc_u32 s7, s45, s43
	v_max_i32_e32 v2, s53, v2
	s_and_b32 s0, s33, 0xffff
	v_sub_u32_e32 v4, v2, v1
	s_cmp_eq_u32 s0, 1
	v_cmp_lt_u32_e32 vcc, 1, v4
	s_cselect_b64 s[0:1], -1, 0
	s_and_b64 s[8:9], vcc, s[0:1]
	s_mov_b64 s[4:5], -1
	s_and_saveexec_b64 s[0:1], s[8:9]
	s_cbranch_execz .LBB8_43
; %bb.40:
	s_lshl_b64 s[4:5], s[42:43], 1
	s_add_u32 s8, s51, s4
	s_addc_u32 s9, s52, s5
	v_and_b32_e32 v5, -2, v4
	s_mov_b64 s[4:5], 0
	v_mov_b32_e32 v6, s7
	v_mov_b32_e32 v7, s9
	s_mov_b32 s9, 0x42fe0000
	v_mov_b32_e32 v8, 0x42fe0000
	s_mov_b32 s10, 0xc3000000
	v_mov_b32_e32 v10, 0xc3000000
	v_mov_b32_e32 v2, v1
	v_mov_b32_e32 v11, v5
.LBB8_41:                               ; =>This Inner Loop Header: Depth=1
	v_ashrrev_i32_e32 v3, 31, v2
	v_lshlrev_b64 v[12:13], 1, v[2:3]
	v_add_u32_e32 v11, -2, v11
	v_add_co_u32_e32 v12, vcc, s8, v12
	v_addc_co_u32_e32 v13, vcc, v7, v13, vcc
	global_load_dword v12, v[12:13], off
	s_waitcnt vmcnt(0)
	v_cvt_f32_f16_e32 v13, v12
	v_cvt_f32_f16_sdwa v12, v12 dst_sel:DWORD dst_unused:UNUSED_PAD src0_sel:WORD_1
	v_mul_f32_e32 v13, v9, v13
	v_mul_f32_e32 v12, v9, v12
	v_rndne_f32_e32 v13, v13
	v_rndne_f32_e32 v12, v12
	v_cmp_nlt_f32_e32 vcc, s9, v13
	v_cndmask_b32_e32 v14, v8, v13, vcc
	v_cmp_nlt_f32_e32 vcc, s9, v12
	v_cndmask_b32_e32 v15, v8, v12, vcc
	v_cmp_ngt_f32_e32 vcc, s10, v12
	v_cndmask_b32_e32 v12, v10, v15, vcc
	v_cmp_ngt_f32_e32 vcc, s10, v13
	v_cndmask_b32_e32 v13, v10, v14, vcc
	v_cvt_i32_f32_e32 v14, v13
	v_cvt_i32_f32_sdwa v15, v12 dst_sel:BYTE_1 dst_unused:UNUSED_PAD src0_sel:DWORD
	v_add_co_u32_e32 v12, vcc, s6, v2
	v_addc_co_u32_e32 v13, vcc, v6, v3, vcc
	v_cmp_eq_u32_e32 vcc, 0, v11
	s_or_b64 s[4:5], vcc, s[4:5]
	v_or_b32_sdwa v3, v14, v15 dst_sel:DWORD dst_unused:UNUSED_PAD src0_sel:BYTE_0 src1_sel:DWORD
	v_add_u32_e32 v2, 2, v2
	global_store_short v[12:13], v3, off
	s_andn2_b64 exec, exec, s[4:5]
	s_cbranch_execnz .LBB8_41
; %bb.42:
	s_or_b64 exec, exec, s[4:5]
	v_cmp_ne_u32_e32 vcc, v4, v5
	v_add_u32_e32 v1, v1, v5
	s_orn2_b64 s[4:5], vcc, exec
.LBB8_43:
	s_or_b64 exec, exec, s[0:1]
	s_and_b64 exec, exec, s[4:5]
	s_cbranch_execz .LBB8_46
; %bb.44:
	s_lshl_b64 s[0:1], s[42:43], 1
	s_add_u32 s0, s36, s0
	v_ashrrev_i32_e32 v2, 31, v1
	s_addc_u32 s1, s37, s1
	v_lshlrev_b64 v[3:4], 1, v[1:2]
	s_add_u32 s0, s34, s0
	s_addc_u32 s1, s35, s1
	v_mov_b32_e32 v5, s1
	v_add_co_u32_e32 v3, vcc, s0, v3
	v_addc_co_u32_e32 v4, vcc, v5, v4, vcc
	s_lshl_b32 s8, s33, 1
	s_mov_b64 s[4:5], 0
	v_mov_b32_e32 v5, s7
	s_mov_b32 s7, 0x42fe0000
	v_mov_b32_e32 v6, 0x42fe0000
	s_mov_b32 s9, 0xc3000000
	v_mov_b32_e32 v7, 0xc3000000
.LBB8_45:                               ; =>This Inner Loop Header: Depth=1
	global_load_ushort v8, v[3:4], off
	v_add_co_u32_e32 v10, vcc, s6, v1
	v_addc_co_u32_e32 v11, vcc, v5, v2, vcc
	v_add_co_u32_e32 v1, vcc, s33, v1
	v_addc_co_u32_e32 v2, vcc, 0, v2, vcc
	;; [unrolled: 2-line block ×3, first 2 shown]
	v_cmp_le_i32_e32 vcc, s53, v1
	s_or_b64 s[4:5], vcc, s[4:5]
	s_waitcnt vmcnt(0)
	v_cvt_f32_f16_e32 v8, v8
	v_mul_f32_e32 v8, v9, v8
	v_rndne_f32_e32 v8, v8
	v_cmp_nlt_f32_e64 s[0:1], s7, v8
	v_cndmask_b32_e64 v12, v6, v8, s[0:1]
	v_cmp_ngt_f32_e64 s[0:1], s9, v8
	v_cndmask_b32_e64 v8, v7, v12, s[0:1]
	v_cvt_i32_f32_e32 v8, v8
	global_store_byte v[10:11], v8, off
	s_andn2_b64 exec, exec, s[4:5]
	s_cbranch_execnz .LBB8_45
.LBB8_46:
	s_or_b64 exec, exec, s[2:3]
	s_mov_b64 s[2:3], 0
.LBB8_47:
	s_and_b64 vcc, exec, s[2:3]
	s_cbranch_vccz .LBB8_51
; %bb.48:
	s_ashr_i32 s42, s50, 4
	v_cmp_gt_i32_e32 vcc, s42, v0
	s_and_saveexec_b64 s[0:1], vcc
	s_cbranch_execz .LBB8_51
; %bb.49:
	s_add_u32 s0, s40, s38
	v_lshlrev_b32_e32 v1, 4, v0
	s_addc_u32 s1, s41, s39
	v_mov_b32_e32 v2, s1
	v_add_co_u32_e32 v1, vcc, s0, v1
	v_addc_co_u32_e32 v2, vcc, 0, v2, vcc
	s_lshl_b32 s38, s33, 4
	v_add_co_u32_e32 v5, vcc, 7, v1
	s_add_u32 s0, s34, s36
	v_addc_co_u32_e32 v6, vcc, 0, v2, vcc
	v_lshlrev_b32_e32 v1, 5, v0
	s_addc_u32 s1, s35, s37
	v_mov_b32_e32 v2, s1
	v_add_co_u32_e32 v7, vcc, s0, v1
	v_addc_co_u32_e32 v8, vcc, 0, v2, vcc
	s_lshl_b32 s36, s33, 5
	s_mov_b64 s[34:35], 0
	s_mov_b32 s37, 0x42fe0000
	v_mov_b32_e32 v10, 0x42fe0000
	s_mov_b32 s39, 0xc3000000
	v_mov_b32_e32 v11, 0xc3000000
.LBB8_50:                               ; =>This Inner Loop Header: Depth=1
	global_load_dwordx4 v[12:15], v[7:8], off
	global_load_dwordx4 v[1:4], v[7:8], off offset:16
	v_add_co_u32_e64 v7, s[30:31], s36, v7
	v_add_u32_e32 v0, s33, v0
	v_addc_co_u32_e64 v8, s[30:31], 0, v8, s[30:31]
	v_cmp_le_i32_e64 s[30:31], s42, v0
	s_or_b64 s[34:35], s[30:31], s[34:35]
	s_waitcnt vmcnt(1)
	v_cvt_f32_f16_e32 v17, v12
	v_cvt_f32_f16_sdwa v12, v12 dst_sel:DWORD dst_unused:UNUSED_PAD src0_sel:WORD_1
	s_waitcnt vmcnt(0)
	v_cvt_f32_f16_e32 v24, v1
	v_cvt_f32_f16_sdwa v25, v1 dst_sel:DWORD dst_unused:UNUSED_PAD src0_sel:WORD_1
	v_mul_f32_e32 v1, v9, v17
	v_cvt_f32_f16_e32 v26, v2
	v_cvt_f32_f16_sdwa v27, v2 dst_sel:DWORD dst_unused:UNUSED_PAD src0_sel:WORD_1
	v_rndne_f32_e32 v2, v1
	v_cvt_f32_f16_e32 v18, v13
	v_cmp_nlt_f32_e32 vcc, s37, v2
	v_cndmask_b32_e32 v1, v10, v2, vcc
	v_cmp_ngt_f32_e32 vcc, s39, v2
	v_mul_f32_e32 v2, v9, v12
	v_cvt_f32_f16_e32 v16, v3
	v_cvt_f32_f16_sdwa v21, v3 dst_sel:DWORD dst_unused:UNUSED_PAD src0_sel:WORD_1
	v_rndne_f32_e32 v3, v2
	v_cvt_f32_f16_sdwa v13, v13 dst_sel:DWORD dst_unused:UNUSED_PAD src0_sel:WORD_1
	v_cmp_nlt_f32_e64 s[0:1], s37, v3
	v_cndmask_b32_e64 v2, v10, v3, s[0:1]
	v_cmp_ngt_f32_e64 s[0:1], s39, v3
	v_mul_f32_e32 v3, v9, v18
	v_cvt_f32_f16_e32 v22, v4
	v_cvt_f32_f16_sdwa v23, v4 dst_sel:DWORD dst_unused:UNUSED_PAD src0_sel:WORD_1
	v_rndne_f32_e32 v4, v3
	v_cvt_f32_f16_e32 v19, v14
	v_cmp_nlt_f32_e64 s[2:3], s37, v4
	v_cndmask_b32_e64 v3, v10, v4, s[2:3]
	v_cmp_ngt_f32_e64 s[2:3], s39, v4
	v_mul_f32_e32 v4, v9, v13
	v_rndne_f32_e32 v12, v4
	v_cvt_f32_f16_sdwa v14, v14 dst_sel:DWORD dst_unused:UNUSED_PAD src0_sel:WORD_1
	v_cmp_nlt_f32_e64 s[4:5], s37, v12
	v_cndmask_b32_e64 v4, v10, v12, s[4:5]
	v_cmp_ngt_f32_e64 s[4:5], s39, v12
	v_mul_f32_e32 v12, v9, v19
	v_rndne_f32_e32 v13, v12
	v_cvt_f32_f16_e32 v20, v15
	v_cmp_nlt_f32_e64 s[6:7], s37, v13
	v_cndmask_b32_e64 v12, v10, v13, s[6:7]
	v_cmp_ngt_f32_e64 s[6:7], s39, v13
	v_mul_f32_e32 v13, v9, v14
	v_cvt_f32_f16_sdwa v15, v15 dst_sel:DWORD dst_unused:UNUSED_PAD src0_sel:WORD_1
	v_rndne_f32_e32 v14, v13
	v_cmp_nlt_f32_e64 s[8:9], s37, v14
	v_cndmask_b32_e64 v13, v10, v14, s[8:9]
	v_cmp_ngt_f32_e64 s[8:9], s39, v14
	v_mul_f32_e32 v14, v9, v20
	v_rndne_f32_e32 v17, v14
	v_cmp_nlt_f32_e64 s[10:11], s37, v17
	v_mul_f32_e32 v15, v9, v15
	v_cndmask_b32_e64 v14, v10, v17, s[10:11]
	v_cmp_ngt_f32_e64 s[10:11], s39, v17
	v_rndne_f32_e32 v17, v15
	v_cmp_nlt_f32_e64 s[12:13], s37, v17
	v_cndmask_b32_e64 v15, v10, v17, s[12:13]
	v_cmp_ngt_f32_e64 s[12:13], s39, v17
	v_mul_f32_e32 v17, v9, v24
	v_rndne_f32_e32 v18, v17
	v_cmp_nlt_f32_e64 s[14:15], s37, v18
	v_cndmask_b32_e64 v17, v10, v18, s[14:15]
	v_cmp_ngt_f32_e64 s[14:15], s39, v18
	v_mul_f32_e32 v18, v9, v25
	;; [unrolled: 5-line block ×4, first 2 shown]
	v_mul_f32_e32 v21, v9, v21
	v_rndne_f32_e32 v24, v20
	v_rndne_f32_e32 v21, v21
	v_cmp_nlt_f32_e64 s[20:21], s37, v24
	v_cmp_nlt_f32_e64 s[22:23], s37, v21
	v_cndmask_b32_e64 v20, v10, v24, s[20:21]
	v_cmp_ngt_f32_e64 s[20:21], s39, v24
	v_cndmask_b32_e64 v24, v10, v21, s[22:23]
	v_cmp_ngt_f32_e64 s[22:23], s39, v21
	v_mul_f32_e32 v21, v9, v22
	v_rndne_f32_e32 v21, v21
	v_cmp_nlt_f32_e64 s[24:25], s37, v21
	v_cndmask_b32_e64 v22, v10, v21, s[24:25]
	v_cmp_ngt_f32_e64 s[24:25], s39, v21
	v_mul_f32_e32 v21, v9, v23
	v_mul_f32_e32 v16, v9, v16
	v_rndne_f32_e32 v21, v21
	v_rndne_f32_e32 v16, v16
	v_cmp_nlt_f32_e64 s[26:27], s37, v21
	v_cmp_nlt_f32_e64 s[28:29], s37, v16
	v_cndmask_b32_e64 v23, v10, v21, s[26:27]
	v_cmp_ngt_f32_e64 s[26:27], s39, v21
	v_cndmask_b32_e64 v21, v10, v16, s[28:29]
	v_cmp_ngt_f32_e64 s[28:29], s39, v16
	v_cndmask_b32_e64 v16, v11, v21, s[28:29]
	v_cndmask_b32_e64 v21, v11, v24, s[22:23]
	;; [unrolled: 1-line block ×8, first 2 shown]
	v_cndmask_b32_e32 v1, v11, v1, vcc
	v_cndmask_b32_e64 v2, v11, v2, s[0:1]
	v_cndmask_b32_e64 v3, v11, v3, s[2:3]
	;; [unrolled: 1-line block ×7, first 2 shown]
	v_cvt_i32_f32_e32 v16, v16
	v_cvt_i32_f32_sdwa v21, v21 dst_sel:BYTE_1 dst_unused:UNUSED_PAD src0_sel:DWORD
	v_cvt_i32_f32_e32 v22, v22
	v_cvt_i32_f32_sdwa v23, v23 dst_sel:BYTE_1 dst_unused:UNUSED_PAD src0_sel:DWORD
	;; [unrolled: 2-line block ×8, first 2 shown]
	v_or_b32_sdwa v16, v16, v21 dst_sel:DWORD dst_unused:UNUSED_PAD src0_sel:BYTE_0 src1_sel:DWORD
	v_or_b32_sdwa v21, v22, v23 dst_sel:WORD_1 dst_unused:UNUSED_PAD src0_sel:BYTE_0 src1_sel:DWORD
	v_or_b32_sdwa v17, v17, v18 dst_sel:DWORD dst_unused:UNUSED_PAD src0_sel:BYTE_0 src1_sel:DWORD
	v_or_b32_sdwa v18, v19, v20 dst_sel:WORD_1 dst_unused:UNUSED_PAD src0_sel:BYTE_0 src1_sel:DWORD
	;; [unrolled: 2-line block ×4, first 2 shown]
	v_or_b32_sdwa v4, v16, v21 dst_sel:DWORD dst_unused:UNUSED_PAD src0_sel:WORD_0 src1_sel:DWORD
	v_or_b32_sdwa v3, v17, v18 dst_sel:DWORD dst_unused:UNUSED_PAD src0_sel:WORD_0 src1_sel:DWORD
	;; [unrolled: 1-line block ×4, first 2 shown]
	global_store_dwordx4 v[5:6], v[1:4], off offset:-7
	v_add_co_u32_e32 v5, vcc, s38, v5
	v_addc_co_u32_e32 v6, vcc, 0, v6, vcc
	s_andn2_b64 exec, exec, s[34:35]
	s_cbranch_execnz .LBB8_50
.LBB8_51:
	s_endpgm
	.section	.rodata,"a",@progbits
	.p2align	6, 0x0
	.amdhsa_kernel _ZN4vllm32dynamic_scaled_int8_quant_kernelIN3c104HalfEfEEvPKT_PaPT0_i
		.amdhsa_group_segment_fixed_size 20
		.amdhsa_private_segment_fixed_size 0
		.amdhsa_kernarg_size 288
		.amdhsa_user_sgpr_count 6
		.amdhsa_user_sgpr_private_segment_buffer 1
		.amdhsa_user_sgpr_dispatch_ptr 0
		.amdhsa_user_sgpr_queue_ptr 0
		.amdhsa_user_sgpr_kernarg_segment_ptr 1
		.amdhsa_user_sgpr_dispatch_id 0
		.amdhsa_user_sgpr_flat_scratch_init 0
		.amdhsa_user_sgpr_private_segment_size 0
		.amdhsa_uses_dynamic_stack 0
		.amdhsa_system_sgpr_private_segment_wavefront_offset 0
		.amdhsa_system_sgpr_workgroup_id_x 1
		.amdhsa_system_sgpr_workgroup_id_y 0
		.amdhsa_system_sgpr_workgroup_id_z 0
		.amdhsa_system_sgpr_workgroup_info 0
		.amdhsa_system_vgpr_workitem_id 0
		.amdhsa_next_free_vgpr 28
		.amdhsa_next_free_sgpr 59
		.amdhsa_reserve_vcc 1
		.amdhsa_reserve_flat_scratch 0
		.amdhsa_float_round_mode_32 0
		.amdhsa_float_round_mode_16_64 0
		.amdhsa_float_denorm_mode_32 3
		.amdhsa_float_denorm_mode_16_64 3
		.amdhsa_dx10_clamp 1
		.amdhsa_ieee_mode 1
		.amdhsa_fp16_overflow 0
		.amdhsa_exception_fp_ieee_invalid_op 0
		.amdhsa_exception_fp_denorm_src 0
		.amdhsa_exception_fp_ieee_div_zero 0
		.amdhsa_exception_fp_ieee_overflow 0
		.amdhsa_exception_fp_ieee_underflow 0
		.amdhsa_exception_fp_ieee_inexact 0
		.amdhsa_exception_int_div_zero 0
	.end_amdhsa_kernel
	.section	.text._ZN4vllm32dynamic_scaled_int8_quant_kernelIN3c104HalfEfEEvPKT_PaPT0_i,"axG",@progbits,_ZN4vllm32dynamic_scaled_int8_quant_kernelIN3c104HalfEfEEvPKT_PaPT0_i,comdat
.Lfunc_end8:
	.size	_ZN4vllm32dynamic_scaled_int8_quant_kernelIN3c104HalfEfEEvPKT_PaPT0_i, .Lfunc_end8-_ZN4vllm32dynamic_scaled_int8_quant_kernelIN3c104HalfEfEEvPKT_PaPT0_i
                                        ; -- End function
	.set _ZN4vllm32dynamic_scaled_int8_quant_kernelIN3c104HalfEfEEvPKT_PaPT0_i.num_vgpr, 28
	.set _ZN4vllm32dynamic_scaled_int8_quant_kernelIN3c104HalfEfEEvPKT_PaPT0_i.num_agpr, 0
	.set _ZN4vllm32dynamic_scaled_int8_quant_kernelIN3c104HalfEfEEvPKT_PaPT0_i.numbered_sgpr, 59
	.set _ZN4vllm32dynamic_scaled_int8_quant_kernelIN3c104HalfEfEEvPKT_PaPT0_i.num_named_barrier, 0
	.set _ZN4vllm32dynamic_scaled_int8_quant_kernelIN3c104HalfEfEEvPKT_PaPT0_i.private_seg_size, 0
	.set _ZN4vllm32dynamic_scaled_int8_quant_kernelIN3c104HalfEfEEvPKT_PaPT0_i.uses_vcc, 1
	.set _ZN4vllm32dynamic_scaled_int8_quant_kernelIN3c104HalfEfEEvPKT_PaPT0_i.uses_flat_scratch, 0
	.set _ZN4vllm32dynamic_scaled_int8_quant_kernelIN3c104HalfEfEEvPKT_PaPT0_i.has_dyn_sized_stack, 0
	.set _ZN4vllm32dynamic_scaled_int8_quant_kernelIN3c104HalfEfEEvPKT_PaPT0_i.has_recursion, 0
	.set _ZN4vllm32dynamic_scaled_int8_quant_kernelIN3c104HalfEfEEvPKT_PaPT0_i.has_indirect_call, 0
	.section	.AMDGPU.csdata,"",@progbits
; Kernel info:
; codeLenInByte = 5224
; TotalNumSgprs: 63
; NumVgprs: 28
; ScratchSize: 0
; MemoryBound: 0
; FloatMode: 240
; IeeeMode: 1
; LDSByteSize: 20 bytes/workgroup (compile time only)
; SGPRBlocks: 7
; VGPRBlocks: 6
; NumSGPRsForWavesPerEU: 63
; NumVGPRsForWavesPerEU: 28
; Occupancy: 9
; WaveLimiterHint : 0
; COMPUTE_PGM_RSRC2:SCRATCH_EN: 0
; COMPUTE_PGM_RSRC2:USER_SGPR: 6
; COMPUTE_PGM_RSRC2:TRAP_HANDLER: 0
; COMPUTE_PGM_RSRC2:TGID_X_EN: 1
; COMPUTE_PGM_RSRC2:TGID_Y_EN: 0
; COMPUTE_PGM_RSRC2:TGID_Z_EN: 0
; COMPUTE_PGM_RSRC2:TIDIG_COMP_CNT: 0
	.section	.text._ZN4vllm36dynamic_scaled_int8_azp_quant_kernelIN3c104HalfEfiEEvPKT_PaPT0_PT1_i,"axG",@progbits,_ZN4vllm36dynamic_scaled_int8_azp_quant_kernelIN3c104HalfEfiEEvPKT_PaPT0_PT1_i,comdat
	.protected	_ZN4vllm36dynamic_scaled_int8_azp_quant_kernelIN3c104HalfEfiEEvPKT_PaPT0_PT1_i ; -- Begin function _ZN4vllm36dynamic_scaled_int8_azp_quant_kernelIN3c104HalfEfiEEvPKT_PaPT0_PT1_i
	.globl	_ZN4vllm36dynamic_scaled_int8_azp_quant_kernelIN3c104HalfEfiEEvPKT_PaPT0_PT1_i
	.p2align	8
	.type	_ZN4vllm36dynamic_scaled_int8_azp_quant_kernelIN3c104HalfEfiEEvPKT_PaPT0_PT1_i,@function
_ZN4vllm36dynamic_scaled_int8_azp_quant_kernelIN3c104HalfEfiEEvPKT_PaPT0_PT1_i: ; @_ZN4vllm36dynamic_scaled_int8_azp_quant_kernelIN3c104HalfEfiEEvPKT_PaPT0_PT1_i
; %bb.0:
	s_load_dword s86, s[4:5], 0x20
	s_load_dword s0, s[4:5], 0x34
	s_load_dwordx2 s[64:65], s[4:5], 0x0
	s_mov_b32 s7, 0
	s_waitcnt lgkmcnt(0)
	s_ashr_i32 s1, s86, 31
	s_and_b32 s33, s0, 0xffff
	s_mul_hi_u32 s0, s86, s6
	s_mul_i32 s1, s1, s6
	s_add_i32 s69, s0, s1
	s_mul_i32 s68, s86, s6
	s_lshl_b64 s[66:67], s[68:69], 1
	s_add_u32 s84, s64, s66
	s_addc_u32 s85, s65, s67
	s_and_b32 s0, s84, 31
	s_mov_b32 s1, s7
	s_cmp_lg_u64 s[0:1], 0
	s_cselect_b64 s[0:1], -1, 0
	s_and_b32 s2, s86, 15
	s_cmp_lg_u32 s2, 0
	s_cselect_b64 s[2:3], -1, 0
	s_or_b64 s[0:1], s[2:3], s[0:1]
	s_and_b64 vcc, exec, s[0:1]
	s_cbranch_vccz .LBB9_14
; %bb.1:
	s_sub_i32 s2, 0, s84
	s_bfe_u32 s2, s2, 0x40001
	s_min_i32 s2, s2, s86
	v_cmp_gt_i32_e32 vcc, s2, v0
	v_mov_b32_e32 v2, 0xff7fffff
	v_mov_b32_e32 v1, 0x7f7fffff
	s_and_saveexec_b64 s[8:9], vcc
	s_cbranch_execz .LBB9_5
; %bb.2:
	s_add_u32 s3, s64, s66
	v_lshlrev_b32_e32 v1, 1, v0
	s_addc_u32 s10, s65, s67
	v_mov_b32_e32 v2, s10
	v_add_co_u32_e32 v3, vcc, s3, v1
	v_addc_co_u32_e32 v4, vcc, 0, v2, vcc
	s_lshl_b32 s3, s33, 1
	v_mov_b32_e32 v1, 0x7f7fffff
	v_mov_b32_e32 v2, 0xff7fffff
	s_mov_b64 s[10:11], 0
	v_mov_b32_e32 v5, v0
.LBB9_3:                                ; =>This Inner Loop Header: Depth=1
	global_load_ushort v6, v[3:4], off
	v_add_co_u32_e32 v3, vcc, s3, v3
	v_add_u32_e32 v5, s33, v5
	v_addc_co_u32_e32 v4, vcc, 0, v4, vcc
	v_max_f32_e32 v1, v1, v1
	v_max_f32_e32 v2, v2, v2
	v_cmp_le_i32_e32 vcc, s2, v5
	s_or_b64 s[10:11], vcc, s[10:11]
	s_waitcnt vmcnt(0)
	v_cvt_f32_f16_e32 v6, v6
	v_min_f32_e32 v1, v1, v6
	v_max_f32_e32 v2, v2, v6
	s_andn2_b64 exec, exec, s[10:11]
	s_cbranch_execnz .LBB9_3
; %bb.4:
	s_or_b64 exec, exec, s[10:11]
.LBB9_5:
	s_or_b64 exec, exec, s[8:9]
	s_sub_i32 s12, s86, s2
	s_ashr_i32 s8, s12, 31
	s_lshr_b32 s8, s8, 28
	s_add_i32 s8, s12, s8
	s_ashr_i32 s13, s8, 4
	s_ashr_i32 s3, s2, 31
	v_cmp_gt_i32_e32 vcc, s13, v0
	s_and_saveexec_b64 s[8:9], vcc
	s_cbranch_execz .LBB9_9
; %bb.6:
	s_lshl_b64 s[10:11], s[2:3], 1
	s_add_u32 s10, s64, s10
	s_addc_u32 s11, s65, s11
	s_add_u32 s10, s10, s66
	v_lshlrev_b32_e32 v3, 5, v0
	s_addc_u32 s11, s11, s67
	v_mov_b32_e32 v4, s11
	v_add_co_u32_e32 v3, vcc, s10, v3
	v_addc_co_u32_e32 v4, vcc, 0, v4, vcc
	s_lshl_b32 s14, s33, 5
	s_mov_b64 s[10:11], 0
	v_mov_b32_e32 v5, v0
.LBB9_7:                                ; =>This Inner Loop Header: Depth=1
	global_load_dwordx4 v[6:9], v[3:4], off
	global_load_dwordx4 v[10:13], v[3:4], off offset:16
	v_add_co_u32_e32 v3, vcc, s14, v3
	v_add_u32_e32 v5, s33, v5
	v_addc_co_u32_e32 v4, vcc, 0, v4, vcc
	v_cmp_le_i32_e32 vcc, s13, v5
	s_or_b64 s[10:11], vcc, s[10:11]
	s_waitcnt vmcnt(1)
	v_cvt_f32_f16_e32 v14, v6
	v_cvt_f32_f16_sdwa v6, v6 dst_sel:DWORD dst_unused:UNUSED_PAD src0_sel:WORD_1
	v_cvt_f32_f16_e32 v15, v7
	v_cvt_f32_f16_sdwa v7, v7 dst_sel:DWORD dst_unused:UNUSED_PAD src0_sel:WORD_1
	;; [unrolled: 2-line block ×4, first 2 shown]
	s_waitcnt vmcnt(0)
	v_cvt_f32_f16_e32 v18, v10
	v_cvt_f32_f16_sdwa v10, v10 dst_sel:DWORD dst_unused:UNUSED_PAD src0_sel:WORD_1
	v_min3_f32 v1, v1, v14, v6
	v_max3_f32 v2, v2, v14, v6
	v_cvt_f32_f16_e32 v19, v11
	v_cvt_f32_f16_sdwa v11, v11 dst_sel:DWORD dst_unused:UNUSED_PAD src0_sel:WORD_1
	v_min3_f32 v1, v1, v15, v7
	v_max3_f32 v2, v2, v15, v7
	;; [unrolled: 4-line block ×4, first 2 shown]
	v_min3_f32 v1, v1, v18, v10
	v_max3_f32 v2, v2, v18, v10
	v_min3_f32 v1, v1, v19, v11
	v_max3_f32 v2, v2, v19, v11
	;; [unrolled: 2-line block ×4, first 2 shown]
	s_andn2_b64 exec, exec, s[10:11]
	s_cbranch_execnz .LBB9_7
; %bb.8:
	s_or_b64 exec, exec, s[10:11]
.LBB9_9:
	s_or_b64 exec, exec, s[8:9]
	v_lshl_add_u32 v3, s13, 4, v0
	v_cmp_gt_i32_e32 vcc, s12, v3
	s_and_saveexec_b64 s[8:9], vcc
	s_cbranch_execz .LBB9_13
; %bb.10:
	s_lshl_b64 s[2:3], s[2:3], 1
	s_add_u32 s2, s66, s2
	s_addc_u32 s3, s67, s3
	v_ashrrev_i32_e32 v4, 31, v3
	v_lshlrev_b64 v[4:5], 1, v[3:4]
	s_add_u32 s2, s64, s2
	s_addc_u32 s3, s65, s3
	v_mov_b32_e32 v6, s3
	v_add_co_u32_e32 v4, vcc, s2, v4
	v_addc_co_u32_e32 v5, vcc, v6, v5, vcc
	s_lshl_b32 s10, s33, 1
	s_mov_b64 s[2:3], 0
.LBB9_11:                               ; =>This Inner Loop Header: Depth=1
	global_load_ushort v6, v[4:5], off
	v_add_co_u32_e32 v4, vcc, s10, v4
	v_add_u32_e32 v3, s33, v3
	v_addc_co_u32_e32 v5, vcc, 0, v5, vcc
	v_max_f32_e32 v1, v1, v1
	v_max_f32_e32 v2, v2, v2
	v_cmp_le_i32_e32 vcc, s12, v3
	s_or_b64 s[2:3], vcc, s[2:3]
	s_waitcnt vmcnt(0)
	v_cvt_f32_f16_e32 v6, v6
	v_min_f32_e32 v1, v1, v6
	v_max_f32_e32 v2, v2, v6
	s_andn2_b64 exec, exec, s[2:3]
	s_cbranch_execnz .LBB9_11
; %bb.12:
	s_or_b64 exec, exec, s[2:3]
.LBB9_13:
	s_or_b64 exec, exec, s[8:9]
	s_branch .LBB9_20
.LBB9_14:
                                        ; implicit-def: $vgpr1
	s_cbranch_execz .LBB9_20
; %bb.15:
	s_ashr_i32 s10, s86, 4
	v_cmp_gt_i32_e32 vcc, s10, v0
	v_mov_b32_e32 v2, 0xff7fffff
	v_mov_b32_e32 v1, 0x7f7fffff
	s_and_saveexec_b64 s[2:3], vcc
	s_cbranch_execz .LBB9_19
; %bb.16:
	s_add_u32 s8, s64, s66
	v_lshlrev_b32_e32 v1, 5, v0
	s_addc_u32 s9, s65, s67
	v_mov_b32_e32 v2, s9
	v_add_co_u32_e32 v3, vcc, s8, v1
	v_addc_co_u32_e32 v4, vcc, 0, v2, vcc
	s_lshl_b32 s11, s33, 5
	v_mov_b32_e32 v1, 0x7f7fffff
	v_mov_b32_e32 v2, 0xff7fffff
	s_mov_b64 s[8:9], 0
	v_mov_b32_e32 v5, v0
.LBB9_17:                               ; =>This Inner Loop Header: Depth=1
	global_load_dwordx4 v[6:9], v[3:4], off
	global_load_dwordx4 v[10:13], v[3:4], off offset:16
	v_add_co_u32_e32 v3, vcc, s11, v3
	v_add_u32_e32 v5, s33, v5
	v_addc_co_u32_e32 v4, vcc, 0, v4, vcc
	v_cmp_le_i32_e32 vcc, s10, v5
	s_or_b64 s[8:9], vcc, s[8:9]
	s_waitcnt vmcnt(1)
	v_cvt_f32_f16_e32 v14, v6
	v_cvt_f32_f16_sdwa v6, v6 dst_sel:DWORD dst_unused:UNUSED_PAD src0_sel:WORD_1
	v_cvt_f32_f16_e32 v15, v7
	v_cvt_f32_f16_sdwa v7, v7 dst_sel:DWORD dst_unused:UNUSED_PAD src0_sel:WORD_1
	;; [unrolled: 2-line block ×4, first 2 shown]
	s_waitcnt vmcnt(0)
	v_cvt_f32_f16_e32 v18, v10
	v_cvt_f32_f16_sdwa v10, v10 dst_sel:DWORD dst_unused:UNUSED_PAD src0_sel:WORD_1
	v_min3_f32 v1, v1, v14, v6
	v_max3_f32 v2, v2, v14, v6
	v_cvt_f32_f16_e32 v19, v11
	v_cvt_f32_f16_sdwa v11, v11 dst_sel:DWORD dst_unused:UNUSED_PAD src0_sel:WORD_1
	v_min3_f32 v1, v1, v15, v7
	v_max3_f32 v2, v2, v15, v7
	;; [unrolled: 4-line block ×4, first 2 shown]
	v_min3_f32 v1, v1, v18, v10
	v_max3_f32 v2, v2, v18, v10
	v_min3_f32 v1, v1, v19, v11
	v_max3_f32 v2, v2, v19, v11
	;; [unrolled: 2-line block ×4, first 2 shown]
	s_andn2_b64 exec, exec, s[8:9]
	s_cbranch_execnz .LBB9_17
; %bb.18:
	s_or_b64 exec, exec, s[8:9]
.LBB9_19:
	s_or_b64 exec, exec, s[2:3]
.LBB9_20:
	v_mbcnt_lo_u32_b32 v3, -1, 0
	v_mbcnt_hi_u32_b32 v3, -1, v3
	v_and_b32_e32 v5, 63, v3
	v_cmp_ne_u32_e32 vcc, 63, v5
	v_addc_co_u32_e32 v4, vcc, 0, v3, vcc
	v_lshlrev_b32_e32 v4, 2, v4
	ds_bpermute_b32 v7, v4, v1
	ds_bpermute_b32 v6, v4, v2
	v_and_b32_e32 v4, 0x3c0, v0
	v_sub_u32_e64 v4, s33, v4 clamp
	v_add_u32_e32 v8, 1, v3
	v_cmp_lt_u32_e32 vcc, v8, v4
	s_and_saveexec_b64 s[2:3], vcc
	s_cbranch_execz .LBB9_22
; %bb.21:
	s_waitcnt lgkmcnt(1)
	v_max_f32_e32 v7, v7, v7
	v_max_f32_e32 v1, v1, v1
	s_waitcnt lgkmcnt(0)
	v_max_f32_e32 v6, v6, v6
	v_max_f32_e32 v2, v2, v2
	v_min_f32_e32 v1, v1, v7
	v_max_f32_e32 v2, v2, v6
.LBB9_22:
	s_or_b64 exec, exec, s[2:3]
	v_cmp_gt_u32_e32 vcc, 62, v5
	s_waitcnt lgkmcnt(0)
	v_cndmask_b32_e64 v6, 0, 2, vcc
	v_add_lshl_u32 v6, v6, v3, 2
	ds_bpermute_b32 v7, v6, v1
	ds_bpermute_b32 v6, v6, v2
	v_add_u32_e32 v8, 2, v3
	v_cmp_lt_u32_e32 vcc, v8, v4
	s_and_saveexec_b64 s[2:3], vcc
	s_cbranch_execz .LBB9_24
; %bb.23:
	s_waitcnt lgkmcnt(1)
	v_max_f32_e32 v7, v7, v7
	v_max_f32_e32 v1, v1, v1
	s_waitcnt lgkmcnt(0)
	v_max_f32_e32 v6, v6, v6
	v_max_f32_e32 v2, v2, v2
	v_min_f32_e32 v1, v1, v7
	v_max_f32_e32 v2, v2, v6
.LBB9_24:
	s_or_b64 exec, exec, s[2:3]
	v_cmp_gt_u32_e32 vcc, 60, v5
	s_waitcnt lgkmcnt(0)
	v_cndmask_b32_e64 v6, 0, 4, vcc
	v_add_lshl_u32 v6, v6, v3, 2
	ds_bpermute_b32 v7, v6, v1
	ds_bpermute_b32 v6, v6, v2
	;; [unrolled: 21-line block ×3, first 2 shown]
	v_add_u32_e32 v8, 8, v3
	v_cmp_lt_u32_e32 vcc, v8, v4
	s_and_saveexec_b64 s[2:3], vcc
	s_cbranch_execz .LBB9_28
; %bb.27:
	s_waitcnt lgkmcnt(1)
	v_max_f32_e32 v7, v7, v7
	v_max_f32_e32 v1, v1, v1
	s_waitcnt lgkmcnt(0)
	v_max_f32_e32 v6, v6, v6
	v_max_f32_e32 v2, v2, v2
	v_min_f32_e32 v1, v1, v7
	v_max_f32_e32 v2, v2, v6
.LBB9_28:
	s_or_b64 exec, exec, s[2:3]
	v_cmp_gt_u32_e32 vcc, 48, v5
	v_cndmask_b32_e64 v5, 0, 16, vcc
	v_add_lshl_u32 v5, v5, v3, 2
	s_waitcnt lgkmcnt(0)
	ds_bpermute_b32 v6, v5, v1
	ds_bpermute_b32 v5, v5, v2
	v_add_u32_e32 v7, 16, v3
	v_cmp_lt_u32_e32 vcc, v7, v4
	s_and_saveexec_b64 s[2:3], vcc
	s_cbranch_execz .LBB9_30
; %bb.29:
	s_waitcnt lgkmcnt(1)
	v_max_f32_e32 v6, v6, v6
	v_max_f32_e32 v1, v1, v1
	s_waitcnt lgkmcnt(0)
	v_max_f32_e32 v5, v5, v5
	v_max_f32_e32 v2, v2, v2
	v_min_f32_e32 v1, v1, v6
	v_max_f32_e32 v2, v2, v5
.LBB9_30:
	s_or_b64 exec, exec, s[2:3]
	s_waitcnt lgkmcnt(0)
	v_lshlrev_b32_e32 v5, 2, v3
	v_or_b32_e32 v6, 0x80, v5
	ds_bpermute_b32 v7, v6, v1
	ds_bpermute_b32 v6, v6, v2
	v_add_u32_e32 v8, 32, v3
	v_cmp_lt_u32_e32 vcc, v8, v4
	s_and_saveexec_b64 s[2:3], vcc
	s_cbranch_execz .LBB9_32
; %bb.31:
	s_waitcnt lgkmcnt(1)
	v_max_f32_e32 v4, v7, v7
	v_max_f32_e32 v1, v1, v1
	v_min_f32_e32 v1, v1, v4
	s_waitcnt lgkmcnt(0)
	v_max_f32_e32 v4, v6, v6
	v_max_f32_e32 v2, v2, v2
	v_max_f32_e32 v2, v2, v4
.LBB9_32:
	s_or_b64 exec, exec, s[2:3]
	v_cmp_eq_u32_e32 vcc, 0, v3
	s_and_saveexec_b64 s[2:3], vcc
; %bb.33:
	v_lshrrev_b32_e32 v4, 3, v0
	v_and_b32_e32 v4, 0x78, v4
	ds_write_b64 v4, v[1:2]
; %bb.34:
	s_or_b64 exec, exec, s[2:3]
	s_load_dwordx2 s[70:71], s[4:5], 0x8
	v_cmp_gt_u32_e32 vcc, 4, v0
	s_waitcnt lgkmcnt(0)
	s_barrier
	s_and_saveexec_b64 s[2:3], vcc
	s_cbranch_execz .LBB9_40
; %bb.35:
	v_lshlrev_b32_e32 v1, 3, v3
	ds_read_b64 v[1:2], v1
	v_and_b32_e32 v4, 3, v3
	v_cmp_ne_u32_e32 vcc, 3, v4
	v_addc_co_u32_e32 v3, vcc, 0, v3, vcc
	v_lshlrev_b32_e32 v3, 2, v3
	s_waitcnt lgkmcnt(0)
	ds_bpermute_b32 v6, v3, v1
	ds_bpermute_b32 v3, v3, v2
	s_add_i32 s8, s33, 63
	s_lshr_b32 s10, s8, 6
	v_add_u32_e32 v7, 1, v4
	v_cmp_gt_u32_e32 vcc, s10, v7
	s_and_saveexec_b64 s[8:9], vcc
	s_cbranch_execz .LBB9_37
; %bb.36:
	s_waitcnt lgkmcnt(1)
	v_max_f32_e32 v6, v6, v6
	v_max_f32_e32 v1, v1, v1
	s_waitcnt lgkmcnt(0)
	v_max_f32_e32 v3, v3, v3
	v_max_f32_e32 v2, v2, v2
	v_min_f32_e32 v1, v1, v6
	v_max_f32_e32 v2, v2, v3
.LBB9_37:
	s_or_b64 exec, exec, s[8:9]
	s_waitcnt lgkmcnt(0)
	v_or_b32_e32 v3, 8, v5
	ds_bpermute_b32 v5, v3, v1
	ds_bpermute_b32 v3, v3, v2
	v_add_u32_e32 v4, 2, v4
	v_cmp_gt_u32_e32 vcc, s10, v4
	s_and_saveexec_b64 s[8:9], vcc
	s_cbranch_execz .LBB9_39
; %bb.38:
	s_waitcnt lgkmcnt(1)
	v_max_f32_e32 v4, v5, v5
	v_max_f32_e32 v1, v1, v1
	s_waitcnt lgkmcnt(0)
	v_max_f32_e32 v3, v3, v3
	v_max_f32_e32 v2, v2, v2
	v_min_f32_e32 v1, v1, v4
	v_max_f32_e32 v2, v2, v3
.LBB9_39:
	s_or_b64 exec, exec, s[8:9]
.LBB9_40:
	s_or_b64 exec, exec, s[2:3]
	v_cmp_eq_u32_e32 vcc, 0, v0
	s_and_saveexec_b64 s[2:3], vcc
	s_cbranch_execz .LBB9_42
; %bb.41:
	v_sub_f32_e32 v2, v2, v1
	s_mov_b32 s10, 0x437f0000
	s_waitcnt lgkmcnt(0)
	v_div_scale_f32 v3, s[8:9], s10, s10, v2
	v_div_scale_f32 v4, vcc, v2, s10, v2
	v_rcp_f32_e32 v5, v3
	v_fma_f32 v6, -v3, v5, 1.0
	v_fmac_f32_e32 v5, v6, v5
	v_mul_f32_e32 v6, v4, v5
	v_fma_f32 v7, -v3, v6, v4
	v_fmac_f32_e32 v6, v7, v5
	v_fma_f32 v3, -v3, v6, v4
	v_div_fmas_f32 v3, v3, v5, v6
	v_div_fixup_f32 v2, v3, s10, v2
	v_div_scale_f32 v3, s[8:9], v2, v2, v1
	v_div_scale_f32 v4, vcc, v1, v2, v1
	s_load_dwordx4 s[8:11], s[4:5], 0x10
	s_lshl_b64 s[4:5], s[6:7], 2
	s_waitcnt lgkmcnt(0)
	s_add_u32 s6, s8, s4
	s_addc_u32 s7, s9, s5
	s_add_u32 s4, s10, s4
	s_addc_u32 s5, s11, s5
	v_rcp_f32_e32 v5, v3
	v_fma_f32 v6, -v3, v5, 1.0
	v_fmac_f32_e32 v5, v6, v5
	v_mul_f32_e32 v6, v4, v5
	v_fma_f32 v7, -v3, v6, v4
	v_fmac_f32_e32 v6, v7, v5
	v_fma_f32 v3, -v3, v6, v4
	v_div_fmas_f32 v3, v3, v5, v6
	v_mov_b32_e32 v4, 0
	global_store_dword v4, v2, s[6:7]
	v_div_fixup_f32 v1, v3, v2, v1
	v_sub_f32_e32 v1, 0xc3000000, v1
	v_rndne_f32_e32 v1, v1
	v_cvt_i32_f32_e32 v1, v1
	ds_write_b64 v4, v[1:2] offset:32
	global_store_dword v4, v1, s[4:5]
.LBB9_42:
	s_or_b64 exec, exec, s[2:3]
	v_mov_b32_e32 v1, 0
	s_waitcnt vmcnt(0) lgkmcnt(0)
	s_barrier
	ds_read_b64 v[9:10], v1 offset:32
	s_add_u32 s72, s70, s68
	s_addc_u32 s73, s71, s69
	s_waitcnt lgkmcnt(0)
	v_div_scale_f32 v1, s[2:3], v10, v10, 1.0
	v_div_scale_f32 v2, vcc, 1.0, v10, 1.0
	s_mov_b64 s[2:3], -1
	v_rcp_f32_e32 v3, v1
	v_fma_f32 v4, -v1, v3, 1.0
	v_fmac_f32_e32 v3, v4, v3
	v_mul_f32_e32 v4, v2, v3
	v_fma_f32 v5, -v1, v4, v2
	v_fmac_f32_e32 v4, v5, v3
	v_fma_f32 v1, -v1, v4, v2
	v_div_fmas_f32 v1, v1, v3, v4
	s_and_b64 vcc, exec, s[0:1]
	v_div_fixup_f32 v16, v1, v10, 1.0
	s_cbranch_vccz .LBB9_140
; %bb.43:
	s_sub_i32 s0, 0, s84
	s_bfe_u32 s0, s0, 0x40001
	s_min_i32 s74, s0, s86
	v_cmp_gt_i32_e32 vcc, s74, v0
	s_and_saveexec_b64 s[0:1], vcc
	s_cbranch_execz .LBB9_55
; %bb.44:
	v_add_u32_e32 v1, 1, v0
	v_max_i32_e32 v1, s74, v1
	s_and_b32 s2, s33, 0xffff
	v_sub_u32_e32 v3, v1, v0
	s_cmp_eq_u32 s2, 1
	v_cmp_lt_u32_e32 vcc, 1, v3
	s_cselect_b64 s[2:3], -1, 0
	s_and_b64 s[6:7], vcc, s[2:3]
	s_mov_b64 s[4:5], -1
	v_mov_b32_e32 v1, v0
	s_and_saveexec_b64 s[2:3], s[6:7]
	s_cbranch_execz .LBB9_48
; %bb.45:
	v_and_b32_e32 v4, -2, v3
	s_mov_b64 s[4:5], 0
	v_mov_b32_e32 v2, 0
	v_mov_b32_e32 v5, s85
	s_mov_b32 s6, 0x4f000000
	s_mov_b32 s7, 0xcf000000
	v_mov_b32_e32 v6, 0xcf000000
	v_bfrev_b32_e32 v7, -2
	s_movk_i32 s8, 0xff80
	v_mov_b32_e32 v8, 0x7f
	v_mov_b32_e32 v1, v0
	;; [unrolled: 1-line block ×3, first 2 shown]
.LBB9_46:                               ; =>This Inner Loop Header: Depth=1
	v_lshlrev_b64 v[11:12], 1, v[1:2]
	v_add_u32_e32 v10, -2, v10
	v_add_co_u32_e32 v11, vcc, s84, v11
	v_addc_co_u32_e32 v12, vcc, v5, v12, vcc
	global_load_dword v11, v[11:12], off
	v_cmp_eq_u32_e32 vcc, 0, v10
	s_or_b64 s[4:5], vcc, s[4:5]
	s_waitcnt vmcnt(0)
	v_cvt_f32_f16_e32 v12, v11
	v_cvt_f32_f16_sdwa v11, v11 dst_sel:DWORD dst_unused:UNUSED_PAD src0_sel:WORD_1
	v_mul_f32_e32 v12, v16, v12
	v_mul_f32_e32 v11, v16, v11
	v_rndne_f32_e32 v11, v11
	v_rndne_f32_e32 v12, v12
	v_cmp_nge_f32_e32 vcc, s7, v11
	v_cndmask_b32_e32 v13, v6, v11, vcc
	v_cmp_nge_f32_e32 vcc, s7, v12
	v_cvt_i32_f32_e32 v13, v13
	v_cndmask_b32_e32 v14, v6, v12, vcc
	v_cvt_i32_f32_e32 v14, v14
	v_cmp_nle_f32_e32 vcc, s6, v11
	v_cndmask_b32_e32 v11, v7, v13, vcc
	v_cmp_nle_f32_e32 vcc, s6, v12
	v_cndmask_b32_e32 v12, v7, v14, vcc
	v_add_u32_e32 v11, v11, v9
	v_add_u32_e32 v12, v12, v9
	v_med3_i32 v11, v11, s8, v8
	v_med3_i32 v12, v12, s8, v8
	v_lshlrev_b16_e32 v11, 8, v11
	v_or_b32_sdwa v11, v12, v11 dst_sel:DWORD dst_unused:UNUSED_PAD src0_sel:BYTE_0 src1_sel:DWORD
	global_store_short v1, v11, s[72:73]
	v_add_u32_e32 v1, 2, v1
	s_andn2_b64 exec, exec, s[4:5]
	s_cbranch_execnz .LBB9_46
; %bb.47:
	s_or_b64 exec, exec, s[4:5]
	v_cmp_ne_u32_e32 vcc, v3, v4
	v_add_u32_e32 v1, v0, v4
	s_orn2_b64 s[4:5], vcc, exec
.LBB9_48:
	s_or_b64 exec, exec, s[2:3]
	s_and_b64 exec, exec, s[4:5]
	s_cbranch_execz .LBB9_55
; %bb.49:
	v_mov_b32_e32 v2, 0
	v_lshlrev_b64 v[2:3], 1, v[1:2]
	s_add_u32 s2, s64, s66
	s_addc_u32 s3, s65, s67
	v_mov_b32_e32 v4, s3
	v_add_co_u32_e32 v2, vcc, s2, v2
	v_addc_co_u32_e32 v3, vcc, v4, v3, vcc
	v_mov_b32_e32 v5, s73
	v_add_co_u32_e32 v4, vcc, s72, v1
	s_lshl_b32 s10, s33, 1
	v_addc_co_u32_e32 v5, vcc, 0, v5, vcc
	s_mov_b64 s[2:3], 0
	s_mov_b32 s11, 0x4f000000
	s_mov_b32 s12, 0xcf000000
	s_movk_i32 s13, 0xff80
	v_mov_b32_e32 v6, 0x7f
	s_mov_b64 s[4:5], 0
	s_branch .LBB9_52
.LBB9_50:                               ;   in Loop: Header=BB9_52 Depth=1
	s_or_b64 exec, exec, s[8:9]
.LBB9_51:                               ;   in Loop: Header=BB9_52 Depth=1
	s_or_b64 exec, exec, s[6:7]
	v_mov_b32_e32 v8, s5
	v_add_co_u32_e32 v10, vcc, s4, v4
	v_add_u32_e32 v7, v7, v9
	v_addc_co_u32_e32 v11, vcc, v5, v8, vcc
	v_med3_i32 v7, v7, s13, v6
	s_add_u32 s4, s4, s33
	global_store_byte v[10:11], v7, off
	v_add_u32_e32 v7, s4, v1
	s_addc_u32 s5, s5, 0
	v_cmp_le_i32_e32 vcc, s74, v7
	s_or_b64 s[2:3], vcc, s[2:3]
	v_add_co_u32_e32 v2, vcc, s10, v2
	v_addc_co_u32_e32 v3, vcc, 0, v3, vcc
	s_andn2_b64 exec, exec, s[2:3]
	s_cbranch_execz .LBB9_55
.LBB9_52:                               ; =>This Inner Loop Header: Depth=1
	global_load_ushort v7, v[2:3], off
	s_waitcnt vmcnt(0)
	v_cvt_f32_f16_e32 v7, v7
	v_mul_f32_e32 v7, v16, v7
	v_rndne_f32_e32 v8, v7
	v_cmp_nle_f32_e32 vcc, s11, v8
	v_bfrev_b32_e32 v7, -2
	s_and_saveexec_b64 s[6:7], vcc
	s_cbranch_execz .LBB9_51
; %bb.53:                               ;   in Loop: Header=BB9_52 Depth=1
	v_cmp_nge_f32_e32 vcc, s12, v8
	v_bfrev_b32_e32 v7, 1
	s_and_saveexec_b64 s[8:9], vcc
	s_cbranch_execz .LBB9_50
; %bb.54:                               ;   in Loop: Header=BB9_52 Depth=1
	v_cvt_i32_f32_e32 v7, v8
	s_branch .LBB9_50
.LBB9_55:
	s_or_b64 exec, exec, s[0:1]
	s_ashr_i32 s75, s74, 31
	s_lshl_b64 s[76:77], s[74:75], 1
	s_add_u32 s88, s84, s76
	s_addc_u32 s11, s85, s77
	s_add_u32 s89, s72, s74
	s_addc_u32 s91, s73, s75
	s_sub_i32 s87, s86, s74
	s_ashr_i32 s0, s87, 31
	s_lshr_b32 s0, s0, 28
	s_add_i32 s0, s87, s0
	s_ashr_i32 s92, s0, 4
	v_cmp_gt_i32_e32 vcc, s92, v0
	s_and_saveexec_b64 s[78:79], vcc
	s_cbranch_execz .LBB9_127
; %bb.56:
	v_add_u32_e32 v1, 1, v0
	v_max_i32_e32 v2, s92, v1
	s_and_b32 s0, s33, 0xffff
	v_sub_u32_e32 v11, v2, v0
	s_cmp_eq_u32 s0, 1
	v_cmp_lt_u32_e32 vcc, 1, v11
	s_cselect_b64 s[0:1], -1, 0
	s_and_b64 s[2:3], vcc, s[0:1]
	s_mov_b64 s[0:1], -1
	v_mov_b32_e32 v10, v0
	s_and_saveexec_b64 s[80:81], s[2:3]
	s_cbranch_execz .LBB9_60
; %bb.57:
	v_and_b32_e32 v12, -2, v11
	v_mov_b32_e32 v4, v1
	s_mov_b64 s[82:83], 0
	v_mov_b32_e32 v2, 0
                                        ; implicit-def: $vgpr61 : SGPR spill to VGPR lane
	v_mov_b32_e32 v10, s11
	s_mov_b32 s93, 0x4f000000
	s_mov_b32 s94, 0xcf000000
	v_mov_b32_e32 v13, 0xcf000000
	v_bfrev_b32_e32 v14, -2
	s_movk_i32 s95, 0xff80
	v_mov_b32_e32 v15, 0x7f
	v_mov_b32_e32 v17, s91
	s_mov_b32 s90, 0xc0c0004
	v_mov_b32_e32 v18, v12
	v_mov_b32_e32 v3, v0
	v_writelane_b32 v61, s11, 0
.LBB9_58:                               ; =>This Inner Loop Header: Depth=1
	v_mov_b32_e32 v1, v3
	v_add_u32_e32 v18, -2, v18
	v_lshlrev_b64 v[7:8], 5, v[1:2]
	v_mov_b32_e32 v5, v4
	v_mov_b32_e32 v6, v2
	v_cmp_eq_u32_e32 vcc, 0, v18
	v_lshlrev_b64 v[19:20], 5, v[5:6]
	s_or_b64 s[82:83], vcc, s[82:83]
	v_add_co_u32_e32 v27, vcc, s88, v7
	v_addc_co_u32_e32 v28, vcc, v10, v8, vcc
	v_lshlrev_b64 v[21:22], 4, v[1:2]
	v_add_co_u32_e32 v31, vcc, s88, v19
	v_addc_co_u32_e32 v32, vcc, v10, v20, vcc
	v_lshlrev_b64 v[23:24], 4, v[5:6]
	v_add_co_u32_e32 v5, vcc, s89, v21
	v_addc_co_u32_e32 v6, vcc, v17, v22, vcc
	v_add_co_u32_e32 v7, vcc, s89, v23
	v_addc_co_u32_e32 v8, vcc, v17, v24, vcc
	global_load_dwordx4 v[19:22], v[31:32], off
	global_load_dwordx4 v[23:26], v[27:28], off
	s_nop 0
	global_load_dwordx4 v[27:30], v[27:28], off offset:16
	s_nop 0
	global_load_dwordx4 v[31:34], v[31:32], off offset:16
	v_add_u32_e32 v4, 2, v4
	v_add_u32_e32 v3, 2, v3
	s_waitcnt vmcnt(3)
	v_cvt_f32_f16_e32 v1, v19
	s_waitcnt vmcnt(2)
	v_cvt_f32_f16_e32 v38, v23
	v_cvt_f32_f16_sdwa v23, v23 dst_sel:DWORD dst_unused:UNUSED_PAD src0_sel:WORD_1
	v_cvt_f32_f16_e32 v39, v24
	v_cvt_f32_f16_sdwa v19, v19 dst_sel:DWORD dst_unused:UNUSED_PAD src0_sel:WORD_1
	v_cvt_f32_f16_sdwa v24, v24 dst_sel:DWORD dst_unused:UNUSED_PAD src0_sel:WORD_1
	s_waitcnt vmcnt(0)
	v_cvt_f32_f16_e32 v46, v31
	v_cvt_f32_f16_e32 v40, v25
	v_cvt_f32_f16_sdwa v25, v25 dst_sel:DWORD dst_unused:UNUSED_PAD src0_sel:WORD_1
	v_mul_f32_e32 v23, v16, v23
	v_cvt_f32_f16_e32 v41, v26
	v_mul_f32_e32 v39, v16, v39
	v_rndne_f32_e32 v23, v23
	v_cvt_f32_f16_sdwa v26, v26 dst_sel:DWORD dst_unused:UNUSED_PAD src0_sel:WORD_1
	v_mul_f32_e32 v24, v16, v24
	v_mul_f32_e32 v38, v16, v38
	;; [unrolled: 1-line block ×4, first 2 shown]
	v_rndne_f32_e32 v39, v39
	v_cmp_nge_f32_e32 vcc, s94, v23
	v_mul_f32_e32 v40, v16, v40
	v_mul_f32_e32 v50, v16, v1
	v_rndne_f32_e32 v24, v24
	v_rndne_f32_e32 v1, v38
	v_rndne_f32_e32 v38, v19
	v_rndne_f32_e32 v19, v46
	v_cndmask_b32_e32 v46, v13, v23, vcc
	v_cmp_nge_f32_e32 vcc, s94, v39
	v_mul_f32_e32 v25, v16, v25
	v_rndne_f32_e32 v40, v40
	v_cndmask_b32_e32 v51, v13, v39, vcc
	v_cmp_nge_f32_e32 vcc, s94, v24
	v_cvt_f32_f16_e32 v35, v20
	v_mul_f32_e32 v41, v16, v41
	v_rndne_f32_e32 v25, v25
	v_cndmask_b32_e32 v52, v13, v24, vcc
	v_cmp_nge_f32_e32 vcc, s94, v40
	v_cvt_f32_f16_sdwa v20, v20 dst_sel:DWORD dst_unused:UNUSED_PAD src0_sel:WORD_1
	v_cvt_f32_f16_e32 v36, v21
	v_cvt_f32_f16_sdwa v21, v21 dst_sel:DWORD dst_unused:UNUSED_PAD src0_sel:WORD_1
	v_cvt_f32_f16_e32 v37, v22
	v_mul_f32_e32 v26, v16, v26
	v_rndne_f32_e32 v41, v41
	v_cndmask_b32_e32 v53, v13, v40, vcc
	v_cmp_nge_f32_e32 vcc, s94, v25
	v_cvt_f32_f16_sdwa v22, v22 dst_sel:DWORD dst_unused:UNUSED_PAD src0_sel:WORD_1
	v_rndne_f32_e32 v26, v26
	v_cndmask_b32_e32 v54, v13, v25, vcc
	v_cmp_nge_f32_e32 vcc, s94, v41
	v_cndmask_b32_e32 v55, v13, v41, vcc
	v_cmp_nge_f32_e32 vcc, s94, v26
	v_cvt_f32_f16_e32 v42, v27
	v_cvt_f32_f16_sdwa v27, v27 dst_sel:DWORD dst_unused:UNUSED_PAD src0_sel:WORD_1
	v_mul_f32_e32 v35, v16, v35
	v_cndmask_b32_e32 v56, v13, v26, vcc
	v_cmp_nge_f32_e32 vcc, s94, v1
	v_cvt_f32_f16_e32 v43, v28
	v_mul_f32_e32 v20, v16, v20
	v_mul_f32_e32 v36, v16, v36
	;; [unrolled: 1-line block ×4, first 2 shown]
	v_rndne_f32_e32 v35, v35
	v_cndmask_b32_e32 v57, v13, v1, vcc
	v_cmp_nge_f32_e32 vcc, s94, v38
	v_cvt_f32_f16_sdwa v28, v28 dst_sel:DWORD dst_unused:UNUSED_PAD src0_sel:WORD_1
	v_mul_f32_e32 v22, v16, v22
	v_rndne_f32_e32 v20, v20
	v_rndne_f32_e32 v36, v36
	;; [unrolled: 1-line block ×4, first 2 shown]
	v_cndmask_b32_e32 v58, v13, v38, vcc
	v_cmp_nge_f32_e32 vcc, s94, v35
	v_rndne_f32_e32 v22, v22
	v_cndmask_b32_e32 v59, v13, v35, vcc
	v_cmp_nge_f32_e32 vcc, s94, v20
	v_cmp_nge_f32_e64 s[0:1], s94, v36
	v_cmp_nge_f32_e64 s[2:3], s94, v21
	;; [unrolled: 1-line block ×3, first 2 shown]
	v_cvt_f32_f16_sdwa v31, v31 dst_sel:DWORD dst_unused:UNUSED_PAD src0_sel:WORD_1
	v_mul_f32_e32 v27, v16, v27
	v_rndne_f32_e32 v50, v50
	v_cndmask_b32_e32 v60, v13, v20, vcc
	v_cmp_nle_f32_e32 vcc, s93, v23
	v_cndmask_b32_e64 v23, v13, v36, s[0:1]
	v_cmp_nle_f32_e64 s[0:1], s93, v39
	v_cndmask_b32_e64 v39, v13, v21, s[2:3]
	v_cmp_nle_f32_e64 s[2:3], s93, v24
	v_cndmask_b32_e64 v24, v13, v37, s[4:5]
	v_cmp_nge_f32_e64 s[4:5], s94, v22
	v_cvt_f32_f16_e32 v47, v32
	v_mul_f32_e32 v43, v16, v43
	v_rndne_f32_e32 v27, v27
	v_cmp_nle_f32_e64 s[6:7], s93, v40
	v_cndmask_b32_e64 v40, v13, v22, s[4:5]
	v_cmp_nge_f32_e64 s[4:5], s94, v50
	v_cvt_f32_f16_sdwa v32, v32 dst_sel:DWORD dst_unused:UNUSED_PAD src0_sel:WORD_1
	v_mul_f32_e32 v28, v16, v28
	v_rndne_f32_e32 v43, v43
	v_cmp_nle_f32_e64 s[8:9], s93, v25
	v_cndmask_b32_e64 v25, v13, v50, s[4:5]
	v_cmp_nge_f32_e64 s[4:5], s94, v27
	v_cvt_f32_f16_e32 v44, v29
	v_mul_f32_e32 v42, v16, v42
	v_rndne_f32_e32 v28, v28
	v_cmp_nle_f32_e64 s[10:11], s93, v41
	v_cndmask_b32_e64 v41, v13, v27, s[4:5]
	v_cmp_nge_f32_e64 s[4:5], s94, v43
	v_cvt_f32_f16_e32 v48, v33
	v_mul_f32_e32 v31, v16, v31
	v_rndne_f32_e32 v42, v42
	v_cmp_nle_f32_e64 s[12:13], s93, v26
	v_cndmask_b32_e64 v26, v13, v43, s[4:5]
	v_cmp_nge_f32_e64 s[4:5], s94, v28
	v_cvt_f32_f16_sdwa v29, v29 dst_sel:DWORD dst_unused:UNUSED_PAD src0_sel:WORD_1
	v_mul_f32_e32 v47, v16, v47
	v_rndne_f32_e32 v31, v31
	v_cmp_nle_f32_e64 s[14:15], s93, v38
	v_cndmask_b32_e64 v38, v13, v28, s[4:5]
	v_cmp_nge_f32_e64 s[4:5], s94, v42
	v_cvt_f32_f16_sdwa v33, v33 dst_sel:DWORD dst_unused:UNUSED_PAD src0_sel:WORD_1
	v_mul_f32_e32 v32, v16, v32
	v_rndne_f32_e32 v47, v47
	v_cmp_nle_f32_e64 s[16:17], s93, v35
	v_cndmask_b32_e64 v35, v13, v42, s[4:5]
	v_cmp_nge_f32_e64 s[4:5], s94, v31
	v_cvt_f32_f16_e32 v49, v34
	v_mul_f32_e32 v44, v16, v44
	v_rndne_f32_e32 v32, v32
	v_cmp_nle_f32_e64 s[18:19], s93, v20
	v_cndmask_b32_e64 v20, v13, v31, s[4:5]
	v_cmp_nge_f32_e64 s[4:5], s94, v47
	v_cvt_f32_f16_e32 v45, v30
	v_mul_f32_e32 v48, v16, v48
	v_rndne_f32_e32 v44, v44
	v_cmp_nle_f32_e64 s[20:21], s93, v36
	v_cndmask_b32_e64 v36, v13, v47, s[4:5]
	v_cmp_nge_f32_e64 s[4:5], s94, v32
	v_cvt_f32_f16_sdwa v34, v34 dst_sel:DWORD dst_unused:UNUSED_PAD src0_sel:WORD_1
	v_mul_f32_e32 v29, v16, v29
	v_rndne_f32_e32 v48, v48
	v_cmp_nle_f32_e64 s[22:23], s93, v21
	v_cndmask_b32_e64 v21, v13, v32, s[4:5]
	v_cmp_nge_f32_e64 s[4:5], s94, v44
	v_cvt_f32_f16_sdwa v30, v30 dst_sel:DWORD dst_unused:UNUSED_PAD src0_sel:WORD_1
	v_mul_f32_e32 v33, v16, v33
	v_rndne_f32_e32 v29, v29
	v_cmp_nle_f32_e64 s[24:25], s93, v37
	v_cndmask_b32_e64 v37, v13, v44, s[4:5]
	v_cmp_nge_f32_e64 s[4:5], s94, v48
	v_mul_f32_e32 v49, v16, v49
	v_rndne_f32_e32 v33, v33
	v_cmp_nle_f32_e64 s[26:27], s93, v22
	v_cndmask_b32_e64 v22, v13, v48, s[4:5]
	v_cmp_nge_f32_e64 s[4:5], s94, v29
	;; [unrolled: 5-line block ×5, first 2 shown]
	v_rndne_f32_e32 v30, v30
	v_cmp_nle_f32_e64 s[36:37], s93, v28
	v_cndmask_b32_e64 v28, v13, v45, s[4:5]
	v_cmp_nge_f32_e64 s[4:5], s94, v34
	v_cmp_nle_f32_e64 s[38:39], s93, v42
	v_cndmask_b32_e64 v42, v13, v34, s[4:5]
	v_cmp_nge_f32_e64 s[4:5], s94, v30
	v_cmp_nle_f32_e64 s[40:41], s93, v31
	v_cndmask_b32_e64 v31, v13, v30, s[4:5]
	v_cmp_nge_f32_e64 s[4:5], s94, v19
	v_cvt_i32_f32_e32 v46, v46
	v_cvt_i32_f32_e32 v51, v51
	;; [unrolled: 1-line block ×3, first 2 shown]
	v_cmp_nle_f32_e64 s[42:43], s93, v47
	v_cndmask_b32_e64 v47, v13, v19, s[4:5]
	v_cvt_i32_f32_e32 v57, v57
	v_cvt_i32_f32_e32 v22, v22
	;; [unrolled: 1-line block ×3, first 2 shown]
	v_cmp_nle_f32_e64 s[50:51], s93, v33
	v_cvt_i32_f32_e32 v33, v42
	v_cvt_i32_f32_e32 v53, v53
	;; [unrolled: 1-line block ×20, first 2 shown]
	v_cmp_nle_f32_e64 s[4:5], s93, v32
	v_cvt_i32_f32_e32 v32, v37
	v_cvt_i32_f32_e32 v37, v50
	v_cmp_nle_f32_e64 s[48:49], s93, v29
	v_cvt_i32_f32_e32 v29, v43
	v_cvt_i32_f32_e32 v28, v28
	;; [unrolled: 1-line block ×3, first 2 shown]
	v_cmp_nle_f32_e64 s[58:59], s93, v30
	v_cvt_i32_f32_e32 v30, v47
	v_cmp_nle_f32_e64 s[46:47], s93, v48
	v_cmp_nle_f32_e64 s[56:57], s93, v34
	;; [unrolled: 1-line block ×7, first 2 shown]
	v_cndmask_b32_e64 v1, v14, v57, s[62:63]
	v_cndmask_b32_e32 v19, v14, v46, vcc
	v_cndmask_b32_e64 v34, v14, v51, s[0:1]
	v_cndmask_b32_e64 v42, v14, v52, s[2:3]
	;; [unrolled: 1-line block ×30, first 2 shown]
	v_add_u32_e32 v1, v1, v9
	v_add_u32_e32 v19, v19, v9
	;; [unrolled: 1-line block ×32, first 2 shown]
	v_med3_i32 v1, v1, s95, v15
	v_med3_i32 v19, v19, s95, v15
	;; [unrolled: 1-line block ×32, first 2 shown]
	v_perm_b32 v1, v1, v19, s90
	v_perm_b32 v19, v34, v42, s90
	;; [unrolled: 1-line block ×3, first 2 shown]
	v_lshlrev_b16_e32 v22, 8, v33
	v_perm_b32 v34, v43, v44, s90
	v_perm_b32 v42, v45, v46, s90
	;; [unrolled: 1-line block ×12, first 2 shown]
	v_lshl_or_b32 v19, v19, 16, v1
	v_or_b32_sdwa v1, v29, v22 dst_sel:WORD_1 dst_unused:UNUSED_PAD src0_sel:BYTE_0 src1_sel:DWORD
	v_lshl_or_b32 v20, v42, 16, v34
	v_lshl_or_b32 v23, v43, 16, v25
	;; [unrolled: 1-line block ×6, first 2 shown]
	v_or_b32_e32 v26, v27, v1
	global_store_dwordx4 v[5:6], v[19:22], off
	global_store_dwordx4 v[7:8], v[23:26], off
	s_andn2_b64 exec, exec, s[82:83]
	s_cbranch_execnz .LBB9_58
; %bb.59:
	s_or_b64 exec, exec, s[82:83]
	v_cmp_ne_u32_e32 vcc, v11, v12
	v_add_u32_e32 v10, v0, v12
	s_orn2_b64 s[0:1], vcc, exec
	v_readlane_b32 s11, v61, 0
.LBB9_60:
	s_or_b64 exec, exec, s[80:81]
	s_and_b64 exec, exec, s[0:1]
	s_cbranch_execz .LBB9_127
; %bb.61:
	s_add_u32 s0, s74, s68
	s_addc_u32 s1, s75, s69
	v_mov_b32_e32 v11, 0
	v_lshlrev_b64 v[1:2], 4, v[10:11]
	s_add_u32 s0, s70, s0
	s_addc_u32 s1, s71, s1
	v_mov_b32_e32 v3, s1
	v_add_co_u32_e32 v1, vcc, s0, v1
	s_lshl_b32 s6, s33, 4
	v_addc_co_u32_e32 v2, vcc, v3, v2, vcc
	s_add_u32 s0, s64, s76
	v_add_co_u32_e32 v12, vcc, 7, v1
	s_addc_u32 s1, s65, s77
	v_addc_co_u32_e32 v13, vcc, 0, v2, vcc
	v_lshlrev_b64 v[1:2], 5, v[10:11]
	s_add_u32 s0, s0, s66
	s_addc_u32 s1, s1, s67
	v_mov_b32_e32 v3, s1
	v_add_co_u32_e32 v14, vcc, s0, v1
	v_addc_co_u32_e32 v15, vcc, v3, v2, vcc
	s_lshl_b32 s7, s33, 5
	s_mov_b64 s[0:1], 0
	s_mov_b32 s8, 0x4f000000
	s_mov_b32 s9, 0xcf000000
	s_movk_i32 s10, 0xff80
	v_mov_b32_e32 v11, 0x7f
	s_branch .LBB9_64
.LBB9_62:                               ;   in Loop: Header=BB9_64 Depth=1
	s_or_b64 exec, exec, s[4:5]
.LBB9_63:                               ;   in Loop: Header=BB9_64 Depth=1
	s_or_b64 exec, exec, s[2:3]
	v_add_u32_e32 v2, v2, v9
	v_add_u32_e32 v3, v3, v9
	;; [unrolled: 1-line block ×3, first 2 shown]
	v_med3_i32 v2, v2, s10, v11
	v_add_u32_e32 v24, v24, v9
	v_med3_i32 v3, v3, s10, v11
	v_med3_i32 v4, v4, s10, v11
	;; [unrolled: 1-line block ×3, first 2 shown]
	v_add_u32_e32 v1, v1, v9
	v_add_u32_e32 v8, v8, v9
	v_lshlrev_b16_e32 v2, 8, v2
	v_lshlrev_b16_e32 v3, 8, v3
	v_med3_i32 v1, v1, s10, v11
	v_add_u32_e32 v23, v23, v9
	v_med3_i32 v8, v8, s10, v11
	v_add_u32_e32 v22, v22, v9
	v_or_b32_sdwa v2, v24, v2 dst_sel:DWORD dst_unused:UNUSED_PAD src0_sel:BYTE_0 src1_sel:DWORD
	v_or_b32_sdwa v3, v4, v3 dst_sel:WORD_1 dst_unused:UNUSED_PAD src0_sel:BYTE_0 src1_sel:DWORD
	v_med3_i32 v23, v23, s10, v11
	v_med3_i32 v22, v22, s10, v11
	v_add_u32_e32 v7, v7, v9
	v_add_u32_e32 v6, v6, v9
	v_or_b32_sdwa v4, v2, v3 dst_sel:DWORD dst_unused:UNUSED_PAD src0_sel:WORD_0 src1_sel:DWORD
	v_lshlrev_b16_e32 v2, 8, v8
	v_lshlrev_b16_e32 v1, 8, v1
	v_med3_i32 v7, v7, s10, v11
	v_add_u32_e32 v21, v21, v9
	v_med3_i32 v6, v6, s10, v11
	v_add_u32_e32 v20, v20, v9
	v_or_b32_sdwa v2, v22, v2 dst_sel:DWORD dst_unused:UNUSED_PAD src0_sel:BYTE_0 src1_sel:DWORD
	v_or_b32_sdwa v1, v23, v1 dst_sel:WORD_1 dst_unused:UNUSED_PAD src0_sel:BYTE_0 src1_sel:DWORD
	v_med3_i32 v21, v21, s10, v11
	v_med3_i32 v20, v20, s10, v11
	v_add_u32_e32 v5, v5, v9
	v_add_u32_e32 v17, v17, v9
	v_or_b32_sdwa v3, v2, v1 dst_sel:DWORD dst_unused:UNUSED_PAD src0_sel:WORD_0 src1_sel:DWORD
	v_lshlrev_b16_e32 v1, 8, v6
	v_lshlrev_b16_e32 v2, 8, v7
	v_med3_i32 v5, v5, s10, v11
	v_add_u32_e32 v19, v19, v9
	v_med3_i32 v17, v17, s10, v11
	v_add_u32_e32 v18, v18, v9
	v_or_b32_sdwa v1, v20, v1 dst_sel:DWORD dst_unused:UNUSED_PAD src0_sel:BYTE_0 src1_sel:DWORD
	v_or_b32_sdwa v2, v21, v2 dst_sel:WORD_1 dst_unused:UNUSED_PAD src0_sel:BYTE_0 src1_sel:DWORD
	v_med3_i32 v19, v19, s10, v11
	v_med3_i32 v18, v18, s10, v11
	v_or_b32_sdwa v2, v1, v2 dst_sel:DWORD dst_unused:UNUSED_PAD src0_sel:WORD_0 src1_sel:DWORD
	v_lshlrev_b16_e32 v1, 8, v17
	v_lshlrev_b16_e32 v5, 8, v5
	v_or_b32_sdwa v1, v18, v1 dst_sel:DWORD dst_unused:UNUSED_PAD src0_sel:BYTE_0 src1_sel:DWORD
	v_or_b32_sdwa v5, v19, v5 dst_sel:WORD_1 dst_unused:UNUSED_PAD src0_sel:BYTE_0 src1_sel:DWORD
	v_or_b32_sdwa v1, v1, v5 dst_sel:DWORD dst_unused:UNUSED_PAD src0_sel:WORD_0 src1_sel:DWORD
	global_store_dwordx4 v[12:13], v[1:4], off offset:-7
	v_add_co_u32_e32 v12, vcc, s6, v12
	v_add_u32_e32 v10, s33, v10
	v_addc_co_u32_e32 v13, vcc, 0, v13, vcc
	v_cmp_le_i32_e32 vcc, s92, v10
	s_or_b64 s[0:1], vcc, s[0:1]
	v_add_co_u32_e32 v14, vcc, s7, v14
	v_addc_co_u32_e32 v15, vcc, 0, v15, vcc
	s_andn2_b64 exec, exec, s[0:1]
	s_cbranch_execz .LBB9_127
.LBB9_64:                               ; =>This Inner Loop Header: Depth=1
	global_load_dwordx4 v[5:8], v[14:15], off
	global_load_dwordx4 v[1:4], v[14:15], off offset:16
	v_bfrev_b32_e32 v17, -2
	s_waitcnt vmcnt(1)
	v_cvt_f32_f16_e32 v18, v5
	v_mul_f32_e32 v18, v16, v18
	v_rndne_f32_e32 v19, v18
	v_cmp_nle_f32_e32 vcc, s8, v19
	v_bfrev_b32_e32 v18, -2
	s_and_saveexec_b64 s[2:3], vcc
	s_cbranch_execz .LBB9_68
; %bb.65:                               ;   in Loop: Header=BB9_64 Depth=1
	v_cmp_nge_f32_e32 vcc, s9, v19
	v_bfrev_b32_e32 v18, 1
	s_and_saveexec_b64 s[4:5], vcc
; %bb.66:                               ;   in Loop: Header=BB9_64 Depth=1
	v_cvt_i32_f32_e32 v18, v19
; %bb.67:                               ;   in Loop: Header=BB9_64 Depth=1
	s_or_b64 exec, exec, s[4:5]
.LBB9_68:                               ;   in Loop: Header=BB9_64 Depth=1
	s_or_b64 exec, exec, s[2:3]
	v_cvt_f32_f16_sdwa v5, v5 dst_sel:DWORD dst_unused:UNUSED_PAD src0_sel:WORD_1
	v_mul_f32_e32 v5, v16, v5
	v_rndne_f32_e32 v5, v5
	v_cmp_nle_f32_e32 vcc, s8, v5
	s_and_saveexec_b64 s[2:3], vcc
	s_cbranch_execz .LBB9_72
; %bb.69:                               ;   in Loop: Header=BB9_64 Depth=1
	v_cmp_nge_f32_e32 vcc, s9, v5
	v_bfrev_b32_e32 v17, 1
	s_and_saveexec_b64 s[4:5], vcc
; %bb.70:                               ;   in Loop: Header=BB9_64 Depth=1
	v_cvt_i32_f32_e32 v17, v5
; %bb.71:                               ;   in Loop: Header=BB9_64 Depth=1
	s_or_b64 exec, exec, s[4:5]
.LBB9_72:                               ;   in Loop: Header=BB9_64 Depth=1
	s_or_b64 exec, exec, s[2:3]
	v_cvt_f32_f16_e32 v19, v6
	v_bfrev_b32_e32 v5, -2
	v_mul_f32_e32 v19, v16, v19
	v_rndne_f32_e32 v20, v19
	v_cmp_nle_f32_e32 vcc, s8, v20
	v_bfrev_b32_e32 v19, -2
	s_and_saveexec_b64 s[2:3], vcc
	s_cbranch_execz .LBB9_76
; %bb.73:                               ;   in Loop: Header=BB9_64 Depth=1
	v_cmp_nge_f32_e32 vcc, s9, v20
	v_bfrev_b32_e32 v19, 1
	s_and_saveexec_b64 s[4:5], vcc
; %bb.74:                               ;   in Loop: Header=BB9_64 Depth=1
	v_cvt_i32_f32_e32 v19, v20
; %bb.75:                               ;   in Loop: Header=BB9_64 Depth=1
	s_or_b64 exec, exec, s[4:5]
.LBB9_76:                               ;   in Loop: Header=BB9_64 Depth=1
	s_or_b64 exec, exec, s[2:3]
	v_cvt_f32_f16_sdwa v6, v6 dst_sel:DWORD dst_unused:UNUSED_PAD src0_sel:WORD_1
	v_mul_f32_e32 v6, v16, v6
	v_rndne_f32_e32 v6, v6
	v_cmp_nle_f32_e32 vcc, s8, v6
	s_and_saveexec_b64 s[2:3], vcc
	s_cbranch_execz .LBB9_80
; %bb.77:                               ;   in Loop: Header=BB9_64 Depth=1
	v_cmp_nge_f32_e32 vcc, s9, v6
	v_bfrev_b32_e32 v5, 1
	s_and_saveexec_b64 s[4:5], vcc
; %bb.78:                               ;   in Loop: Header=BB9_64 Depth=1
	v_cvt_i32_f32_e32 v5, v6
; %bb.79:                               ;   in Loop: Header=BB9_64 Depth=1
	s_or_b64 exec, exec, s[4:5]
.LBB9_80:                               ;   in Loop: Header=BB9_64 Depth=1
	s_or_b64 exec, exec, s[2:3]
	v_cvt_f32_f16_e32 v20, v7
	v_bfrev_b32_e32 v6, -2
	;; [unrolled: 34-line block ×3, first 2 shown]
	v_mul_f32_e32 v21, v16, v21
	v_rndne_f32_e32 v22, v21
	v_cmp_nle_f32_e32 vcc, s8, v22
	v_bfrev_b32_e32 v21, -2
	s_and_saveexec_b64 s[2:3], vcc
	s_cbranch_execz .LBB9_92
; %bb.89:                               ;   in Loop: Header=BB9_64 Depth=1
	v_cmp_nge_f32_e32 vcc, s9, v22
	v_bfrev_b32_e32 v21, 1
	s_and_saveexec_b64 s[4:5], vcc
; %bb.90:                               ;   in Loop: Header=BB9_64 Depth=1
	v_cvt_i32_f32_e32 v21, v22
; %bb.91:                               ;   in Loop: Header=BB9_64 Depth=1
	s_or_b64 exec, exec, s[4:5]
.LBB9_92:                               ;   in Loop: Header=BB9_64 Depth=1
	s_or_b64 exec, exec, s[2:3]
	v_cvt_f32_f16_sdwa v8, v8 dst_sel:DWORD dst_unused:UNUSED_PAD src0_sel:WORD_1
	v_mul_f32_e32 v8, v16, v8
	v_rndne_f32_e32 v8, v8
	v_cmp_nle_f32_e32 vcc, s8, v8
	s_and_saveexec_b64 s[2:3], vcc
	s_cbranch_execz .LBB9_96
; %bb.93:                               ;   in Loop: Header=BB9_64 Depth=1
	v_cmp_nge_f32_e32 vcc, s9, v8
	v_bfrev_b32_e32 v7, 1
	s_and_saveexec_b64 s[4:5], vcc
; %bb.94:                               ;   in Loop: Header=BB9_64 Depth=1
	v_cvt_i32_f32_e32 v7, v8
; %bb.95:                               ;   in Loop: Header=BB9_64 Depth=1
	s_or_b64 exec, exec, s[4:5]
.LBB9_96:                               ;   in Loop: Header=BB9_64 Depth=1
	s_or_b64 exec, exec, s[2:3]
	s_waitcnt vmcnt(0)
	v_cvt_f32_f16_e32 v22, v1
	v_bfrev_b32_e32 v8, -2
	v_mul_f32_e32 v22, v16, v22
	v_rndne_f32_e32 v23, v22
	v_cmp_nle_f32_e32 vcc, s8, v23
	v_bfrev_b32_e32 v22, -2
	s_and_saveexec_b64 s[2:3], vcc
	s_cbranch_execz .LBB9_100
; %bb.97:                               ;   in Loop: Header=BB9_64 Depth=1
	v_cmp_nge_f32_e32 vcc, s9, v23
	v_bfrev_b32_e32 v22, 1
	s_and_saveexec_b64 s[4:5], vcc
; %bb.98:                               ;   in Loop: Header=BB9_64 Depth=1
	v_cvt_i32_f32_e32 v22, v23
; %bb.99:                               ;   in Loop: Header=BB9_64 Depth=1
	s_or_b64 exec, exec, s[4:5]
.LBB9_100:                              ;   in Loop: Header=BB9_64 Depth=1
	s_or_b64 exec, exec, s[2:3]
	v_cvt_f32_f16_sdwa v1, v1 dst_sel:DWORD dst_unused:UNUSED_PAD src0_sel:WORD_1
	v_mul_f32_e32 v1, v16, v1
	v_rndne_f32_e32 v1, v1
	v_cmp_nle_f32_e32 vcc, s8, v1
	s_and_saveexec_b64 s[2:3], vcc
	s_cbranch_execz .LBB9_104
; %bb.101:                              ;   in Loop: Header=BB9_64 Depth=1
	v_cmp_nge_f32_e32 vcc, s9, v1
	v_bfrev_b32_e32 v8, 1
	s_and_saveexec_b64 s[4:5], vcc
; %bb.102:                              ;   in Loop: Header=BB9_64 Depth=1
	v_cvt_i32_f32_e32 v8, v1
; %bb.103:                              ;   in Loop: Header=BB9_64 Depth=1
	s_or_b64 exec, exec, s[4:5]
.LBB9_104:                              ;   in Loop: Header=BB9_64 Depth=1
	s_or_b64 exec, exec, s[2:3]
	v_cvt_f32_f16_e32 v23, v2
	v_bfrev_b32_e32 v1, -2
	v_mul_f32_e32 v23, v16, v23
	v_rndne_f32_e32 v24, v23
	v_cmp_nle_f32_e32 vcc, s8, v24
	v_bfrev_b32_e32 v23, -2
	s_and_saveexec_b64 s[2:3], vcc
	s_cbranch_execz .LBB9_108
; %bb.105:                              ;   in Loop: Header=BB9_64 Depth=1
	v_cmp_nge_f32_e32 vcc, s9, v24
	v_bfrev_b32_e32 v23, 1
	s_and_saveexec_b64 s[4:5], vcc
; %bb.106:                              ;   in Loop: Header=BB9_64 Depth=1
	v_cvt_i32_f32_e32 v23, v24
; %bb.107:                              ;   in Loop: Header=BB9_64 Depth=1
	s_or_b64 exec, exec, s[4:5]
.LBB9_108:                              ;   in Loop: Header=BB9_64 Depth=1
	s_or_b64 exec, exec, s[2:3]
	v_cvt_f32_f16_sdwa v2, v2 dst_sel:DWORD dst_unused:UNUSED_PAD src0_sel:WORD_1
	v_mul_f32_e32 v2, v16, v2
	v_rndne_f32_e32 v2, v2
	v_cmp_nle_f32_e32 vcc, s8, v2
	s_and_saveexec_b64 s[2:3], vcc
	s_cbranch_execz .LBB9_112
; %bb.109:                              ;   in Loop: Header=BB9_64 Depth=1
	v_cmp_nge_f32_e32 vcc, s9, v2
	v_bfrev_b32_e32 v1, 1
	s_and_saveexec_b64 s[4:5], vcc
; %bb.110:                              ;   in Loop: Header=BB9_64 Depth=1
	v_cvt_i32_f32_e32 v1, v2
; %bb.111:                              ;   in Loop: Header=BB9_64 Depth=1
	s_or_b64 exec, exec, s[4:5]
.LBB9_112:                              ;   in Loop: Header=BB9_64 Depth=1
	s_or_b64 exec, exec, s[2:3]
	v_cvt_f32_f16_e32 v24, v3
	v_bfrev_b32_e32 v2, -2
	v_mul_f32_e32 v24, v16, v24
	v_rndne_f32_e32 v25, v24
	v_cmp_nle_f32_e32 vcc, s8, v25
	v_bfrev_b32_e32 v24, -2
	s_and_saveexec_b64 s[2:3], vcc
	s_cbranch_execz .LBB9_116
; %bb.113:                              ;   in Loop: Header=BB9_64 Depth=1
	v_cmp_nge_f32_e32 vcc, s9, v25
	v_bfrev_b32_e32 v24, 1
	s_and_saveexec_b64 s[4:5], vcc
; %bb.114:                              ;   in Loop: Header=BB9_64 Depth=1
	v_cvt_i32_f32_e32 v24, v25
; %bb.115:                              ;   in Loop: Header=BB9_64 Depth=1
	s_or_b64 exec, exec, s[4:5]
.LBB9_116:                              ;   in Loop: Header=BB9_64 Depth=1
	;; [unrolled: 34-line block ×3, first 2 shown]
	s_or_b64 exec, exec, s[2:3]
	v_cvt_f32_f16_sdwa v4, v4 dst_sel:DWORD dst_unused:UNUSED_PAD src0_sel:WORD_1
	v_mul_f32_e32 v4, v16, v4
	v_rndne_f32_e32 v4, v4
	v_cmp_nle_f32_e32 vcc, s8, v4
	s_and_saveexec_b64 s[2:3], vcc
	s_cbranch_execz .LBB9_63
; %bb.125:                              ;   in Loop: Header=BB9_64 Depth=1
	v_cmp_nge_f32_e32 vcc, s9, v4
	v_bfrev_b32_e32 v3, 1
	s_and_saveexec_b64 s[4:5], vcc
	s_cbranch_execz .LBB9_62
; %bb.126:                              ;   in Loop: Header=BB9_64 Depth=1
	v_cvt_i32_f32_e32 v3, v4
	s_branch .LBB9_62
.LBB9_127:
	s_or_b64 exec, exec, s[78:79]
	v_lshl_add_u32 v1, s92, 4, v0
	v_cmp_gt_i32_e32 vcc, s87, v1
	s_and_saveexec_b64 s[0:1], vcc
	s_cbranch_execz .LBB9_139
; %bb.128:
	v_add_u32_e32 v2, 1, v1
	v_max_i32_e32 v2, s87, v2
	s_and_b32 s2, s33, 0xffff
	v_sub_u32_e32 v4, v2, v1
	s_cmp_eq_u32 s2, 1
	v_cmp_lt_u32_e32 vcc, 1, v4
	s_cselect_b64 s[2:3], -1, 0
	s_and_b64 s[6:7], vcc, s[2:3]
	s_mov_b64 s[4:5], -1
	s_and_saveexec_b64 s[2:3], s[6:7]
	s_cbranch_execz .LBB9_132
; %bb.129:
	v_and_b32_e32 v5, -2, v4
	s_mov_b64 s[4:5], 0
	v_mov_b32_e32 v6, s91
	v_mov_b32_e32 v7, s11
	s_mov_b32 s6, 0x4f000000
	s_mov_b32 s7, 0xcf000000
	v_mov_b32_e32 v8, 0xcf000000
	v_bfrev_b32_e32 v10, -2
	s_movk_i32 s8, 0xff80
	v_mov_b32_e32 v11, 0x7f
	v_mov_b32_e32 v2, v1
	;; [unrolled: 1-line block ×3, first 2 shown]
.LBB9_130:                              ; =>This Inner Loop Header: Depth=1
	v_ashrrev_i32_e32 v3, 31, v2
	v_lshlrev_b64 v[13:14], 1, v[2:3]
	v_add_u32_e32 v12, -2, v12
	v_add_co_u32_e32 v13, vcc, s88, v13
	v_addc_co_u32_e32 v14, vcc, v7, v14, vcc
	global_load_dword v15, v[13:14], off
	v_add_co_u32_e32 v13, vcc, s89, v2
	v_addc_co_u32_e32 v14, vcc, v6, v3, vcc
	v_cmp_eq_u32_e32 vcc, 0, v12
	s_or_b64 s[4:5], vcc, s[4:5]
	v_add_u32_e32 v2, 2, v2
	s_waitcnt vmcnt(0)
	v_cvt_f32_f16_e32 v3, v15
	v_cvt_f32_f16_sdwa v15, v15 dst_sel:DWORD dst_unused:UNUSED_PAD src0_sel:WORD_1
	v_mul_f32_e32 v3, v16, v3
	v_mul_f32_e32 v15, v16, v15
	v_rndne_f32_e32 v15, v15
	v_rndne_f32_e32 v3, v3
	v_cmp_nge_f32_e32 vcc, s7, v15
	v_cndmask_b32_e32 v17, v8, v15, vcc
	v_cmp_nge_f32_e32 vcc, s7, v3
	v_cvt_i32_f32_e32 v17, v17
	v_cndmask_b32_e32 v18, v8, v3, vcc
	v_cvt_i32_f32_e32 v18, v18
	v_cmp_nle_f32_e32 vcc, s6, v15
	v_cndmask_b32_e32 v15, v10, v17, vcc
	v_cmp_nle_f32_e32 vcc, s6, v3
	v_cndmask_b32_e32 v3, v10, v18, vcc
	v_add_u32_e32 v15, v15, v9
	v_add_u32_e32 v3, v3, v9
	v_med3_i32 v15, v15, s8, v11
	v_med3_i32 v3, v3, s8, v11
	v_lshlrev_b16_e32 v15, 8, v15
	v_or_b32_sdwa v3, v3, v15 dst_sel:DWORD dst_unused:UNUSED_PAD src0_sel:BYTE_0 src1_sel:DWORD
	global_store_short v[13:14], v3, off
	s_andn2_b64 exec, exec, s[4:5]
	s_cbranch_execnz .LBB9_130
; %bb.131:
	s_or_b64 exec, exec, s[4:5]
	v_cmp_ne_u32_e32 vcc, v4, v5
	v_add_u32_e32 v1, v1, v5
	s_orn2_b64 s[4:5], vcc, exec
.LBB9_132:
	s_or_b64 exec, exec, s[2:3]
	s_and_b64 exec, exec, s[4:5]
	s_cbranch_execz .LBB9_139
; %bb.133:
	s_add_u32 s2, s66, s76
	s_addc_u32 s3, s67, s77
	v_ashrrev_i32_e32 v2, 31, v1
	v_lshlrev_b64 v[3:4], 1, v[1:2]
	s_add_u32 s2, s64, s2
	s_addc_u32 s3, s65, s3
	s_lshl_b32 s10, s33, 1
	v_add_co_u32_e32 v3, vcc, s2, v3
	s_add_u32 s2, s74, s68
	v_mov_b32_e32 v5, s3
	s_addc_u32 s3, s75, s69
	s_add_u32 s2, s70, s2
	v_addc_co_u32_e32 v4, vcc, v5, v4, vcc
	s_addc_u32 s3, s71, s3
	v_mov_b32_e32 v6, s3
	v_add_co_u32_e32 v5, vcc, s2, v1
	v_addc_co_u32_e32 v2, vcc, v6, v2, vcc
	s_mov_b64 s[2:3], 0
	s_mov_b32 s11, 0x4f000000
	s_mov_b32 s12, 0xcf000000
	s_movk_i32 s13, 0xff80
	v_mov_b32_e32 v6, 0x7f
	s_mov_b64 s[4:5], 0
	s_branch .LBB9_136
.LBB9_134:                              ;   in Loop: Header=BB9_136 Depth=1
	s_or_b64 exec, exec, s[8:9]
.LBB9_135:                              ;   in Loop: Header=BB9_136 Depth=1
	s_or_b64 exec, exec, s[6:7]
	v_mov_b32_e32 v8, s5
	v_add_co_u32_e32 v10, vcc, s4, v5
	v_add_u32_e32 v7, v7, v9
	v_addc_co_u32_e32 v11, vcc, v2, v8, vcc
	v_med3_i32 v7, v7, s13, v6
	s_add_u32 s4, s4, s33
	global_store_byte v[10:11], v7, off
	v_add_u32_e32 v7, s4, v1
	s_addc_u32 s5, s5, 0
	v_cmp_le_i32_e32 vcc, s87, v7
	s_or_b64 s[2:3], vcc, s[2:3]
	v_add_co_u32_e32 v3, vcc, s10, v3
	v_addc_co_u32_e32 v4, vcc, 0, v4, vcc
	s_andn2_b64 exec, exec, s[2:3]
	s_cbranch_execz .LBB9_139
.LBB9_136:                              ; =>This Inner Loop Header: Depth=1
	global_load_ushort v7, v[3:4], off
	s_waitcnt vmcnt(0)
	v_cvt_f32_f16_e32 v7, v7
	v_mul_f32_e32 v7, v16, v7
	v_rndne_f32_e32 v8, v7
	v_cmp_nle_f32_e32 vcc, s11, v8
	v_bfrev_b32_e32 v7, -2
	s_and_saveexec_b64 s[6:7], vcc
	s_cbranch_execz .LBB9_135
; %bb.137:                              ;   in Loop: Header=BB9_136 Depth=1
	v_cmp_nge_f32_e32 vcc, s12, v8
	v_bfrev_b32_e32 v7, 1
	s_and_saveexec_b64 s[8:9], vcc
	s_cbranch_execz .LBB9_134
; %bb.138:                              ;   in Loop: Header=BB9_136 Depth=1
	v_cvt_i32_f32_e32 v7, v8
	s_branch .LBB9_134
.LBB9_139:
	s_or_b64 exec, exec, s[0:1]
	s_mov_b64 s[2:3], 0
.LBB9_140:
	s_and_b64 vcc, exec, s[2:3]
	s_cbranch_vccz .LBB9_213
; %bb.141:
	s_ashr_i32 s78, s86, 4
	v_cmp_gt_i32_e32 vcc, s78, v0
	s_and_saveexec_b64 s[0:1], vcc
	s_cbranch_execz .LBB9_213
; %bb.142:
	v_add_u32_e32 v1, 1, v0
	v_max_i32_e32 v2, s78, v1
	s_and_b32 s0, s33, 0xffff
	v_sub_u32_e32 v10, v2, v0
	s_cmp_eq_u32 s0, 1
	v_cmp_lt_u32_e32 vcc, 1, v10
	s_cselect_b64 s[0:1], -1, 0
	s_and_b64 s[2:3], vcc, s[0:1]
	s_mov_b64 s[0:1], -1
	s_and_saveexec_b64 s[74:75], s[2:3]
	s_cbranch_execz .LBB9_146
; %bb.143:
	v_and_b32_e32 v11, -2, v10
	v_mov_b32_e32 v4, v1
	s_mov_b64 s[76:77], 0
	v_mov_b32_e32 v2, 0
	v_mov_b32_e32 v12, s85
	s_mov_b32 s79, 0x4f000000
	s_mov_b32 s80, 0xcf000000
	v_mov_b32_e32 v13, 0xcf000000
	v_bfrev_b32_e32 v14, -2
	s_movk_i32 s81, 0xff80
	v_mov_b32_e32 v15, 0x7f
	v_mov_b32_e32 v17, s73
	s_mov_b32 s73, 0xc0c0004
	v_mov_b32_e32 v18, v11
	v_mov_b32_e32 v3, v0
.LBB9_144:                              ; =>This Inner Loop Header: Depth=1
	v_mov_b32_e32 v1, v3
	v_add_u32_e32 v18, -2, v18
	v_lshlrev_b64 v[7:8], 5, v[1:2]
	v_cmp_eq_u32_e32 vcc, 0, v18
	v_lshlrev_b64 v[19:20], 4, v[1:2]
	s_or_b64 s[76:77], vcc, s[76:77]
	v_add_co_u32_e32 v27, vcc, s84, v7
	v_mov_b32_e32 v5, v4
	v_mov_b32_e32 v6, v2
	v_addc_co_u32_e32 v28, vcc, v12, v8, vcc
	v_lshlrev_b64 v[21:22], 5, v[5:6]
	v_lshlrev_b64 v[23:24], 4, v[5:6]
	v_add_co_u32_e32 v5, vcc, s72, v19
	v_addc_co_u32_e32 v6, vcc, v17, v20, vcc
	v_add_co_u32_e32 v31, vcc, s84, v21
	v_addc_co_u32_e32 v32, vcc, v12, v22, vcc
	;; [unrolled: 2-line block ×3, first 2 shown]
	global_load_dwordx4 v[19:22], v[27:28], off
	global_load_dwordx4 v[23:26], v[27:28], off offset:16
                                        ; kill: killed $vgpr27 killed $vgpr28
	s_nop 0
	global_load_dwordx4 v[27:30], v[31:32], off
	s_nop 0
	global_load_dwordx4 v[31:34], v[31:32], off offset:16
	v_add_u32_e32 v4, 2, v4
	v_add_u32_e32 v3, 2, v3
	s_waitcnt vmcnt(3)
	v_cvt_f32_f16_e32 v1, v19
	v_cvt_f32_f16_sdwa v19, v19 dst_sel:DWORD dst_unused:UNUSED_PAD src0_sel:WORD_1
	v_cvt_f32_f16_e32 v35, v20
	v_cvt_f32_f16_sdwa v20, v20 dst_sel:DWORD dst_unused:UNUSED_PAD src0_sel:WORD_1
	s_waitcnt vmcnt(0)
	v_cvt_f32_f16_e32 v48, v33
	v_cvt_f32_f16_e32 v36, v21
	v_cvt_f32_f16_sdwa v21, v21 dst_sel:DWORD dst_unused:UNUSED_PAD src0_sel:WORD_1
	v_mul_f32_e32 v19, v16, v19
	v_cvt_f32_f16_e32 v37, v22
	v_mul_f32_e32 v35, v16, v35
	v_rndne_f32_e32 v50, v19
	v_cvt_f32_f16_sdwa v22, v22 dst_sel:DWORD dst_unused:UNUSED_PAD src0_sel:WORD_1
	v_mul_f32_e32 v20, v16, v20
	v_mul_f32_e32 v48, v16, v48
	v_rndne_f32_e32 v35, v35
	v_cmp_nge_f32_e32 vcc, s80, v50
	v_mul_f32_e32 v36, v16, v36
	v_rndne_f32_e32 v20, v20
	v_rndne_f32_e32 v19, v48
	v_cndmask_b32_e32 v48, v13, v50, vcc
	v_cmp_nge_f32_e32 vcc, s80, v35
	v_cvt_f32_f16_e32 v38, v23
	v_cvt_f32_f16_sdwa v23, v23 dst_sel:DWORD dst_unused:UNUSED_PAD src0_sel:WORD_1
	v_mul_f32_e32 v21, v16, v21
	v_rndne_f32_e32 v36, v36
	v_cndmask_b32_e32 v51, v13, v35, vcc
	v_cmp_nge_f32_e32 vcc, s80, v20
	v_cvt_f32_f16_e32 v39, v24
	v_mul_f32_e32 v37, v16, v37
	v_rndne_f32_e32 v21, v21
	v_cndmask_b32_e32 v52, v13, v20, vcc
	v_cmp_nge_f32_e32 vcc, s80, v36
	v_cvt_f32_f16_sdwa v24, v24 dst_sel:DWORD dst_unused:UNUSED_PAD src0_sel:WORD_1
	v_cvt_f32_f16_e32 v40, v25
	v_cvt_f32_f16_sdwa v25, v25 dst_sel:DWORD dst_unused:UNUSED_PAD src0_sel:WORD_1
	v_cvt_f32_f16_e32 v41, v26
	v_mul_f32_e32 v22, v16, v22
	v_rndne_f32_e32 v37, v37
	v_cndmask_b32_e32 v53, v13, v36, vcc
	v_cmp_nge_f32_e32 vcc, s80, v21
	v_cvt_f32_f16_sdwa v26, v26 dst_sel:DWORD dst_unused:UNUSED_PAD src0_sel:WORD_1
	v_mul_f32_e32 v1, v16, v1
	v_rndne_f32_e32 v22, v22
	v_cndmask_b32_e32 v54, v13, v21, vcc
	v_cmp_nge_f32_e32 vcc, s80, v37
	v_mul_f32_e32 v23, v16, v23
	v_rndne_f32_e32 v1, v1
	v_cndmask_b32_e32 v55, v13, v37, vcc
	v_cmp_nge_f32_e32 vcc, s80, v22
	v_cvt_f32_f16_e32 v42, v27
	v_cvt_f32_f16_sdwa v27, v27 dst_sel:DWORD dst_unused:UNUSED_PAD src0_sel:WORD_1
	v_mul_f32_e32 v39, v16, v39
	v_rndne_f32_e32 v23, v23
	v_cndmask_b32_e32 v56, v13, v22, vcc
	v_cmp_nge_f32_e32 vcc, s80, v1
	v_cvt_f32_f16_e32 v43, v28
	v_mul_f32_e32 v24, v16, v24
	v_mul_f32_e32 v38, v16, v38
	;; [unrolled: 1-line block ×4, first 2 shown]
	v_rndne_f32_e32 v39, v39
	v_cndmask_b32_e32 v57, v13, v1, vcc
	v_cmp_nge_f32_e32 vcc, s80, v23
	v_cvt_f32_f16_sdwa v28, v28 dst_sel:DWORD dst_unused:UNUSED_PAD src0_sel:WORD_1
	v_mul_f32_e32 v26, v16, v26
	v_rndne_f32_e32 v24, v24
	v_rndne_f32_e32 v38, v38
	;; [unrolled: 1-line block ×4, first 2 shown]
	v_cndmask_b32_e32 v58, v13, v23, vcc
	v_cmp_nge_f32_e32 vcc, s80, v39
	v_cvt_f32_f16_e32 v44, v29
	v_mul_f32_e32 v40, v16, v40
	v_rndne_f32_e32 v26, v26
	v_cndmask_b32_e32 v59, v13, v39, vcc
	v_cmp_nge_f32_e32 vcc, s80, v24
	v_cmp_nge_f32_e64 s[0:1], s80, v38
	v_cmp_nge_f32_e64 s[2:3], s80, v25
	;; [unrolled: 1-line block ×3, first 2 shown]
	v_cvt_f32_f16_sdwa v29, v29 dst_sel:DWORD dst_unused:UNUSED_PAD src0_sel:WORD_1
	v_mul_f32_e32 v27, v16, v27
	v_rndne_f32_e32 v40, v40
	v_cndmask_b32_e32 v60, v13, v24, vcc
	v_cmp_nle_f32_e32 vcc, s79, v50
	v_cndmask_b32_e64 v50, v13, v38, s[0:1]
	v_cmp_nle_f32_e64 s[0:1], s79, v35
	v_cndmask_b32_e64 v35, v13, v25, s[2:3]
	v_cmp_nle_f32_e64 s[2:3], s79, v20
	v_cndmask_b32_e64 v20, v13, v41, s[4:5]
	v_cmp_nge_f32_e64 s[4:5], s80, v26
	v_cvt_f32_f16_e32 v45, v30
	v_mul_f32_e32 v43, v16, v43
	v_rndne_f32_e32 v27, v27
	v_cmp_nle_f32_e64 s[6:7], s79, v36
	v_cndmask_b32_e64 v36, v13, v26, s[4:5]
	v_cmp_nge_f32_e64 s[4:5], s80, v40
	v_cvt_f32_f16_sdwa v30, v30 dst_sel:DWORD dst_unused:UNUSED_PAD src0_sel:WORD_1
	v_mul_f32_e32 v28, v16, v28
	v_rndne_f32_e32 v43, v43
	v_cmp_nle_f32_e64 s[8:9], s79, v21
	v_cndmask_b32_e64 v21, v13, v40, s[4:5]
	v_cmp_nge_f32_e64 s[4:5], s80, v27
	v_mul_f32_e32 v44, v16, v44
	v_rndne_f32_e32 v28, v28
	v_cmp_nle_f32_e64 s[10:11], s79, v37
	v_cndmask_b32_e64 v37, v13, v27, s[4:5]
	v_cmp_nge_f32_e64 s[4:5], s80, v43
	v_cvt_f32_f16_e32 v46, v31
	v_cvt_f32_f16_sdwa v31, v31 dst_sel:DWORD dst_unused:UNUSED_PAD src0_sel:WORD_1
	v_mul_f32_e32 v29, v16, v29
	v_rndne_f32_e32 v44, v44
	v_cmp_nle_f32_e64 s[12:13], s79, v22
	v_cndmask_b32_e64 v22, v13, v43, s[4:5]
	v_cmp_nge_f32_e64 s[4:5], s80, v28
	v_cvt_f32_f16_e32 v47, v32
	v_mul_f32_e32 v45, v16, v45
	v_rndne_f32_e32 v29, v29
	v_cmp_nle_f32_e64 s[14:15], s79, v23
	v_cndmask_b32_e64 v23, v13, v28, s[4:5]
	v_cmp_nge_f32_e64 s[4:5], s80, v44
	v_cvt_f32_f16_sdwa v32, v32 dst_sel:DWORD dst_unused:UNUSED_PAD src0_sel:WORD_1
	v_mul_f32_e32 v30, v16, v30
	v_rndne_f32_e32 v45, v45
	v_cmp_nle_f32_e64 s[16:17], s79, v39
	v_cndmask_b32_e64 v39, v13, v44, s[4:5]
	v_cmp_nge_f32_e64 s[4:5], s80, v29
	v_mul_f32_e32 v42, v16, v42
	v_rndne_f32_e32 v30, v30
	v_cmp_nle_f32_e64 s[18:19], s79, v24
	v_cndmask_b32_e64 v24, v13, v29, s[4:5]
	v_cmp_nge_f32_e64 s[4:5], s80, v45
	v_cvt_f32_f16_sdwa v33, v33 dst_sel:DWORD dst_unused:UNUSED_PAD src0_sel:WORD_1
	v_mul_f32_e32 v31, v16, v31
	v_rndne_f32_e32 v42, v42
	v_cmp_nle_f32_e64 s[20:21], s79, v38
	v_cndmask_b32_e64 v38, v13, v45, s[4:5]
	v_cmp_nge_f32_e64 s[4:5], s80, v30
	v_cvt_f32_f16_e32 v49, v34
	v_mul_f32_e32 v47, v16, v47
	v_rndne_f32_e32 v31, v31
	v_cmp_nle_f32_e64 s[22:23], s79, v25
	v_cndmask_b32_e64 v25, v13, v30, s[4:5]
	v_cmp_nge_f32_e64 s[4:5], s80, v42
	v_cvt_f32_f16_sdwa v34, v34 dst_sel:DWORD dst_unused:UNUSED_PAD src0_sel:WORD_1
	v_mul_f32_e32 v32, v16, v32
	v_rndne_f32_e32 v47, v47
	v_cmp_nle_f32_e64 s[24:25], s79, v41
	v_cndmask_b32_e64 v41, v13, v42, s[4:5]
	v_cmp_nge_f32_e64 s[4:5], s80, v31
	v_mul_f32_e32 v46, v16, v46
	v_rndne_f32_e32 v32, v32
	v_cmp_nle_f32_e64 s[26:27], s79, v26
	v_cndmask_b32_e64 v26, v13, v31, s[4:5]
	v_cmp_nge_f32_e64 s[4:5], s80, v47
	;; [unrolled: 5-line block ×5, first 2 shown]
	v_rndne_f32_e32 v34, v34
	v_cmp_nle_f32_e64 s[36:37], s79, v28
	v_cndmask_b32_e64 v28, v13, v33, s[4:5]
	v_cmp_nge_f32_e64 s[4:5], s80, v49
	v_cmp_nle_f32_e64 s[38:39], s79, v44
	v_cndmask_b32_e64 v44, v13, v49, s[4:5]
	v_cmp_nge_f32_e64 s[4:5], s80, v34
	;; [unrolled: 3-line block ×3, first 2 shown]
	v_cvt_i32_f32_e32 v48, v48
	v_cvt_i32_f32_e32 v51, v51
	;; [unrolled: 1-line block ×3, first 2 shown]
	v_cmp_nle_f32_e64 s[42:43], s79, v45
	v_cndmask_b32_e64 v45, v13, v19, s[4:5]
	v_cvt_i32_f32_e32 v57, v57
	v_cvt_i32_f32_e32 v29, v29
	;; [unrolled: 1-line block ×21, first 2 shown]
	v_cmp_nle_f32_e64 s[4:5], s79, v30
	v_cvt_i32_f32_e32 v30, v41
	v_cvt_i32_f32_e32 v26, v26
	v_cmp_nle_f32_e64 s[46:47], s79, v31
	v_cvt_i32_f32_e32 v31, v40
	v_cvt_i32_f32_e32 v27, v27
	;; [unrolled: 3-line block ×3, first 2 shown]
	v_cmp_nle_f32_e64 s[54:55], s79, v33
	v_cvt_i32_f32_e32 v33, v44
	v_cmp_nle_f32_e64 s[58:59], s79, v34
	v_cvt_i32_f32_e32 v34, v45
	v_cmp_nle_f32_e64 s[62:63], s79, v1
	v_cmp_nle_f32_e64 s[44:45], s79, v42
	;; [unrolled: 1-line block ×6, first 2 shown]
	v_cndmask_b32_e64 v1, v14, v57, s[62:63]
	v_cndmask_b32_e32 v19, v14, v48, vcc
	v_cndmask_b32_e64 v40, v14, v51, s[0:1]
	v_cndmask_b32_e64 v41, v14, v52, s[2:3]
	;; [unrolled: 1-line block ×30, first 2 shown]
	v_add_u32_e32 v1, v1, v9
	v_add_u32_e32 v19, v19, v9
	;; [unrolled: 1-line block ×32, first 2 shown]
	v_med3_i32 v1, v1, s81, v15
	v_med3_i32 v19, v19, s81, v15
	;; [unrolled: 1-line block ×32, first 2 shown]
	v_perm_b32 v1, v1, v19, s73
	v_perm_b32 v19, v40, v41, s73
	v_lshlrev_b16_e32 v29, 8, v29
	v_perm_b32 v40, v42, v43, s73
	v_perm_b32 v41, v44, v45, s73
	;; [unrolled: 1-line block ×13, first 2 shown]
	v_lshl_or_b32 v19, v19, 16, v1
	v_or_b32_sdwa v1, v33, v29 dst_sel:WORD_1 dst_unused:UNUSED_PAD src0_sel:BYTE_0 src1_sel:DWORD
	v_lshl_or_b32 v20, v41, 16, v40
	v_lshl_or_b32 v21, v43, 16, v42
	;; [unrolled: 1-line block ×6, first 2 shown]
	v_or_b32_e32 v26, v28, v1
	global_store_dwordx4 v[5:6], v[19:22], off
	global_store_dwordx4 v[7:8], v[23:26], off
	s_andn2_b64 exec, exec, s[76:77]
	s_cbranch_execnz .LBB9_144
; %bb.145:
	s_or_b64 exec, exec, s[76:77]
	v_cmp_ne_u32_e32 vcc, v10, v11
	v_add_u32_e32 v0, v0, v11
	s_orn2_b64 s[0:1], vcc, exec
.LBB9_146:
	s_or_b64 exec, exec, s[74:75]
	s_and_b64 exec, exec, s[0:1]
	s_cbranch_execz .LBB9_213
; %bb.147:
	v_mov_b32_e32 v1, 0
	v_lshlrev_b64 v[2:3], 4, v[0:1]
	s_add_u32 s0, s70, s68
	s_addc_u32 s1, s71, s69
	v_mov_b32_e32 v4, s1
	v_add_co_u32_e32 v2, vcc, s0, v2
	v_addc_co_u32_e32 v3, vcc, v4, v3, vcc
	s_lshl_b32 s6, s33, 4
	v_add_co_u32_e32 v10, vcc, 7, v2
	v_lshlrev_b64 v[1:2], 5, v[0:1]
	s_add_u32 s0, s64, s66
	v_addc_co_u32_e32 v11, vcc, 0, v3, vcc
	s_addc_u32 s1, s65, s67
	v_mov_b32_e32 v3, s1
	v_add_co_u32_e32 v12, vcc, s0, v1
	v_addc_co_u32_e32 v13, vcc, v3, v2, vcc
	s_lshl_b32 s7, s33, 5
	s_mov_b64 s[0:1], 0
	s_mov_b32 s8, 0x4f000000
	s_mov_b32 s9, 0xcf000000
	s_movk_i32 s10, 0xff80
	v_mov_b32_e32 v14, 0x7f
	s_branch .LBB9_150
.LBB9_148:                              ;   in Loop: Header=BB9_150 Depth=1
	s_or_b64 exec, exec, s[4:5]
.LBB9_149:                              ;   in Loop: Header=BB9_150 Depth=1
	s_or_b64 exec, exec, s[2:3]
	v_add_u32_e32 v2, v2, v9
	v_add_u32_e32 v3, v3, v9
	;; [unrolled: 1-line block ×3, first 2 shown]
	v_med3_i32 v2, v2, s10, v14
	v_add_u32_e32 v23, v23, v9
	v_med3_i32 v3, v3, s10, v14
	v_med3_i32 v4, v4, s10, v14
	;; [unrolled: 1-line block ×3, first 2 shown]
	v_add_u32_e32 v1, v1, v9
	v_add_u32_e32 v8, v8, v9
	v_lshlrev_b16_e32 v2, 8, v2
	v_lshlrev_b16_e32 v3, 8, v3
	v_med3_i32 v1, v1, s10, v14
	v_add_u32_e32 v22, v22, v9
	v_med3_i32 v8, v8, s10, v14
	v_add_u32_e32 v21, v21, v9
	v_or_b32_sdwa v2, v23, v2 dst_sel:DWORD dst_unused:UNUSED_PAD src0_sel:BYTE_0 src1_sel:DWORD
	v_or_b32_sdwa v3, v4, v3 dst_sel:WORD_1 dst_unused:UNUSED_PAD src0_sel:BYTE_0 src1_sel:DWORD
	v_med3_i32 v22, v22, s10, v14
	v_med3_i32 v21, v21, s10, v14
	v_add_u32_e32 v7, v7, v9
	v_add_u32_e32 v6, v6, v9
	v_or_b32_sdwa v4, v2, v3 dst_sel:DWORD dst_unused:UNUSED_PAD src0_sel:WORD_0 src1_sel:DWORD
	v_lshlrev_b16_e32 v2, 8, v8
	v_lshlrev_b16_e32 v1, 8, v1
	v_med3_i32 v7, v7, s10, v14
	v_add_u32_e32 v20, v20, v9
	v_med3_i32 v6, v6, s10, v14
	v_add_u32_e32 v19, v19, v9
	v_or_b32_sdwa v2, v21, v2 dst_sel:DWORD dst_unused:UNUSED_PAD src0_sel:BYTE_0 src1_sel:DWORD
	v_or_b32_sdwa v1, v22, v1 dst_sel:WORD_1 dst_unused:UNUSED_PAD src0_sel:BYTE_0 src1_sel:DWORD
	v_med3_i32 v20, v20, s10, v14
	v_med3_i32 v19, v19, s10, v14
	v_add_u32_e32 v5, v5, v9
	v_add_u32_e32 v15, v15, v9
	v_or_b32_sdwa v3, v2, v1 dst_sel:DWORD dst_unused:UNUSED_PAD src0_sel:WORD_0 src1_sel:DWORD
	v_lshlrev_b16_e32 v1, 8, v6
	v_lshlrev_b16_e32 v2, 8, v7
	v_med3_i32 v5, v5, s10, v14
	v_add_u32_e32 v18, v18, v9
	v_med3_i32 v15, v15, s10, v14
	v_add_u32_e32 v17, v17, v9
	v_or_b32_sdwa v1, v19, v1 dst_sel:DWORD dst_unused:UNUSED_PAD src0_sel:BYTE_0 src1_sel:DWORD
	v_or_b32_sdwa v2, v20, v2 dst_sel:WORD_1 dst_unused:UNUSED_PAD src0_sel:BYTE_0 src1_sel:DWORD
	v_med3_i32 v18, v18, s10, v14
	v_med3_i32 v17, v17, s10, v14
	v_or_b32_sdwa v2, v1, v2 dst_sel:DWORD dst_unused:UNUSED_PAD src0_sel:WORD_0 src1_sel:DWORD
	v_lshlrev_b16_e32 v1, 8, v15
	v_lshlrev_b16_e32 v5, 8, v5
	v_or_b32_sdwa v1, v17, v1 dst_sel:DWORD dst_unused:UNUSED_PAD src0_sel:BYTE_0 src1_sel:DWORD
	v_or_b32_sdwa v5, v18, v5 dst_sel:WORD_1 dst_unused:UNUSED_PAD src0_sel:BYTE_0 src1_sel:DWORD
	v_or_b32_sdwa v1, v1, v5 dst_sel:DWORD dst_unused:UNUSED_PAD src0_sel:WORD_0 src1_sel:DWORD
	global_store_dwordx4 v[10:11], v[1:4], off offset:-7
	v_add_co_u32_e32 v10, vcc, s6, v10
	v_add_u32_e32 v0, s33, v0
	v_addc_co_u32_e32 v11, vcc, 0, v11, vcc
	v_cmp_le_i32_e32 vcc, s78, v0
	s_or_b64 s[0:1], vcc, s[0:1]
	v_add_co_u32_e32 v12, vcc, s7, v12
	v_addc_co_u32_e32 v13, vcc, 0, v13, vcc
	s_andn2_b64 exec, exec, s[0:1]
	s_cbranch_execz .LBB9_213
.LBB9_150:                              ; =>This Inner Loop Header: Depth=1
	global_load_dwordx4 v[5:8], v[12:13], off
	global_load_dwordx4 v[1:4], v[12:13], off offset:16
	v_bfrev_b32_e32 v15, -2
	s_waitcnt vmcnt(1)
	v_cvt_f32_f16_e32 v17, v5
	v_mul_f32_e32 v17, v16, v17
	v_rndne_f32_e32 v18, v17
	v_cmp_nle_f32_e32 vcc, s8, v18
	v_bfrev_b32_e32 v17, -2
	s_and_saveexec_b64 s[2:3], vcc
	s_cbranch_execz .LBB9_154
; %bb.151:                              ;   in Loop: Header=BB9_150 Depth=1
	v_cmp_nge_f32_e32 vcc, s9, v18
	v_bfrev_b32_e32 v17, 1
	s_and_saveexec_b64 s[4:5], vcc
; %bb.152:                              ;   in Loop: Header=BB9_150 Depth=1
	v_cvt_i32_f32_e32 v17, v18
; %bb.153:                              ;   in Loop: Header=BB9_150 Depth=1
	s_or_b64 exec, exec, s[4:5]
.LBB9_154:                              ;   in Loop: Header=BB9_150 Depth=1
	s_or_b64 exec, exec, s[2:3]
	v_cvt_f32_f16_sdwa v5, v5 dst_sel:DWORD dst_unused:UNUSED_PAD src0_sel:WORD_1
	v_mul_f32_e32 v5, v16, v5
	v_rndne_f32_e32 v5, v5
	v_cmp_nle_f32_e32 vcc, s8, v5
	s_and_saveexec_b64 s[2:3], vcc
	s_cbranch_execz .LBB9_158
; %bb.155:                              ;   in Loop: Header=BB9_150 Depth=1
	v_cmp_nge_f32_e32 vcc, s9, v5
	v_bfrev_b32_e32 v15, 1
	s_and_saveexec_b64 s[4:5], vcc
; %bb.156:                              ;   in Loop: Header=BB9_150 Depth=1
	v_cvt_i32_f32_e32 v15, v5
; %bb.157:                              ;   in Loop: Header=BB9_150 Depth=1
	s_or_b64 exec, exec, s[4:5]
.LBB9_158:                              ;   in Loop: Header=BB9_150 Depth=1
	s_or_b64 exec, exec, s[2:3]
	v_cvt_f32_f16_e32 v18, v6
	v_bfrev_b32_e32 v5, -2
	v_mul_f32_e32 v18, v16, v18
	v_rndne_f32_e32 v19, v18
	v_cmp_nle_f32_e32 vcc, s8, v19
	v_bfrev_b32_e32 v18, -2
	s_and_saveexec_b64 s[2:3], vcc
	s_cbranch_execz .LBB9_162
; %bb.159:                              ;   in Loop: Header=BB9_150 Depth=1
	v_cmp_nge_f32_e32 vcc, s9, v19
	v_bfrev_b32_e32 v18, 1
	s_and_saveexec_b64 s[4:5], vcc
; %bb.160:                              ;   in Loop: Header=BB9_150 Depth=1
	v_cvt_i32_f32_e32 v18, v19
; %bb.161:                              ;   in Loop: Header=BB9_150 Depth=1
	s_or_b64 exec, exec, s[4:5]
.LBB9_162:                              ;   in Loop: Header=BB9_150 Depth=1
	s_or_b64 exec, exec, s[2:3]
	v_cvt_f32_f16_sdwa v6, v6 dst_sel:DWORD dst_unused:UNUSED_PAD src0_sel:WORD_1
	v_mul_f32_e32 v6, v16, v6
	v_rndne_f32_e32 v6, v6
	v_cmp_nle_f32_e32 vcc, s8, v6
	s_and_saveexec_b64 s[2:3], vcc
	s_cbranch_execz .LBB9_166
; %bb.163:                              ;   in Loop: Header=BB9_150 Depth=1
	v_cmp_nge_f32_e32 vcc, s9, v6
	v_bfrev_b32_e32 v5, 1
	s_and_saveexec_b64 s[4:5], vcc
; %bb.164:                              ;   in Loop: Header=BB9_150 Depth=1
	v_cvt_i32_f32_e32 v5, v6
; %bb.165:                              ;   in Loop: Header=BB9_150 Depth=1
	s_or_b64 exec, exec, s[4:5]
.LBB9_166:                              ;   in Loop: Header=BB9_150 Depth=1
	s_or_b64 exec, exec, s[2:3]
	v_cvt_f32_f16_e32 v19, v7
	v_bfrev_b32_e32 v6, -2
	;; [unrolled: 34-line block ×3, first 2 shown]
	v_mul_f32_e32 v20, v16, v20
	v_rndne_f32_e32 v21, v20
	v_cmp_nle_f32_e32 vcc, s8, v21
	v_bfrev_b32_e32 v20, -2
	s_and_saveexec_b64 s[2:3], vcc
	s_cbranch_execz .LBB9_178
; %bb.175:                              ;   in Loop: Header=BB9_150 Depth=1
	v_cmp_nge_f32_e32 vcc, s9, v21
	v_bfrev_b32_e32 v20, 1
	s_and_saveexec_b64 s[4:5], vcc
; %bb.176:                              ;   in Loop: Header=BB9_150 Depth=1
	v_cvt_i32_f32_e32 v20, v21
; %bb.177:                              ;   in Loop: Header=BB9_150 Depth=1
	s_or_b64 exec, exec, s[4:5]
.LBB9_178:                              ;   in Loop: Header=BB9_150 Depth=1
	s_or_b64 exec, exec, s[2:3]
	v_cvt_f32_f16_sdwa v8, v8 dst_sel:DWORD dst_unused:UNUSED_PAD src0_sel:WORD_1
	v_mul_f32_e32 v8, v16, v8
	v_rndne_f32_e32 v8, v8
	v_cmp_nle_f32_e32 vcc, s8, v8
	s_and_saveexec_b64 s[2:3], vcc
	s_cbranch_execz .LBB9_182
; %bb.179:                              ;   in Loop: Header=BB9_150 Depth=1
	v_cmp_nge_f32_e32 vcc, s9, v8
	v_bfrev_b32_e32 v7, 1
	s_and_saveexec_b64 s[4:5], vcc
; %bb.180:                              ;   in Loop: Header=BB9_150 Depth=1
	v_cvt_i32_f32_e32 v7, v8
; %bb.181:                              ;   in Loop: Header=BB9_150 Depth=1
	s_or_b64 exec, exec, s[4:5]
.LBB9_182:                              ;   in Loop: Header=BB9_150 Depth=1
	s_or_b64 exec, exec, s[2:3]
	s_waitcnt vmcnt(0)
	v_cvt_f32_f16_e32 v21, v1
	v_bfrev_b32_e32 v8, -2
	v_mul_f32_e32 v21, v16, v21
	v_rndne_f32_e32 v22, v21
	v_cmp_nle_f32_e32 vcc, s8, v22
	v_bfrev_b32_e32 v21, -2
	s_and_saveexec_b64 s[2:3], vcc
	s_cbranch_execz .LBB9_186
; %bb.183:                              ;   in Loop: Header=BB9_150 Depth=1
	v_cmp_nge_f32_e32 vcc, s9, v22
	v_bfrev_b32_e32 v21, 1
	s_and_saveexec_b64 s[4:5], vcc
; %bb.184:                              ;   in Loop: Header=BB9_150 Depth=1
	v_cvt_i32_f32_e32 v21, v22
; %bb.185:                              ;   in Loop: Header=BB9_150 Depth=1
	s_or_b64 exec, exec, s[4:5]
.LBB9_186:                              ;   in Loop: Header=BB9_150 Depth=1
	s_or_b64 exec, exec, s[2:3]
	v_cvt_f32_f16_sdwa v1, v1 dst_sel:DWORD dst_unused:UNUSED_PAD src0_sel:WORD_1
	v_mul_f32_e32 v1, v16, v1
	v_rndne_f32_e32 v1, v1
	v_cmp_nle_f32_e32 vcc, s8, v1
	s_and_saveexec_b64 s[2:3], vcc
	s_cbranch_execz .LBB9_190
; %bb.187:                              ;   in Loop: Header=BB9_150 Depth=1
	v_cmp_nge_f32_e32 vcc, s9, v1
	v_bfrev_b32_e32 v8, 1
	s_and_saveexec_b64 s[4:5], vcc
; %bb.188:                              ;   in Loop: Header=BB9_150 Depth=1
	v_cvt_i32_f32_e32 v8, v1
; %bb.189:                              ;   in Loop: Header=BB9_150 Depth=1
	s_or_b64 exec, exec, s[4:5]
.LBB9_190:                              ;   in Loop: Header=BB9_150 Depth=1
	s_or_b64 exec, exec, s[2:3]
	v_cvt_f32_f16_e32 v22, v2
	v_bfrev_b32_e32 v1, -2
	v_mul_f32_e32 v22, v16, v22
	v_rndne_f32_e32 v23, v22
	v_cmp_nle_f32_e32 vcc, s8, v23
	v_bfrev_b32_e32 v22, -2
	s_and_saveexec_b64 s[2:3], vcc
	s_cbranch_execz .LBB9_194
; %bb.191:                              ;   in Loop: Header=BB9_150 Depth=1
	v_cmp_nge_f32_e32 vcc, s9, v23
	v_bfrev_b32_e32 v22, 1
	s_and_saveexec_b64 s[4:5], vcc
; %bb.192:                              ;   in Loop: Header=BB9_150 Depth=1
	v_cvt_i32_f32_e32 v22, v23
; %bb.193:                              ;   in Loop: Header=BB9_150 Depth=1
	s_or_b64 exec, exec, s[4:5]
.LBB9_194:                              ;   in Loop: Header=BB9_150 Depth=1
	s_or_b64 exec, exec, s[2:3]
	v_cvt_f32_f16_sdwa v2, v2 dst_sel:DWORD dst_unused:UNUSED_PAD src0_sel:WORD_1
	v_mul_f32_e32 v2, v16, v2
	v_rndne_f32_e32 v2, v2
	v_cmp_nle_f32_e32 vcc, s8, v2
	s_and_saveexec_b64 s[2:3], vcc
	s_cbranch_execz .LBB9_198
; %bb.195:                              ;   in Loop: Header=BB9_150 Depth=1
	v_cmp_nge_f32_e32 vcc, s9, v2
	v_bfrev_b32_e32 v1, 1
	s_and_saveexec_b64 s[4:5], vcc
; %bb.196:                              ;   in Loop: Header=BB9_150 Depth=1
	v_cvt_i32_f32_e32 v1, v2
; %bb.197:                              ;   in Loop: Header=BB9_150 Depth=1
	s_or_b64 exec, exec, s[4:5]
.LBB9_198:                              ;   in Loop: Header=BB9_150 Depth=1
	s_or_b64 exec, exec, s[2:3]
	;; [unrolled: 34-line block ×3, first 2 shown]
	v_cvt_f32_f16_e32 v24, v4
	v_bfrev_b32_e32 v3, -2
	v_mul_f32_e32 v24, v16, v24
	v_rndne_f32_e32 v25, v24
	v_cmp_nle_f32_e32 vcc, s8, v25
	v_bfrev_b32_e32 v24, -2
	s_and_saveexec_b64 s[2:3], vcc
	s_cbranch_execz .LBB9_210
; %bb.207:                              ;   in Loop: Header=BB9_150 Depth=1
	v_cmp_nge_f32_e32 vcc, s9, v25
	v_bfrev_b32_e32 v24, 1
	s_and_saveexec_b64 s[4:5], vcc
; %bb.208:                              ;   in Loop: Header=BB9_150 Depth=1
	v_cvt_i32_f32_e32 v24, v25
; %bb.209:                              ;   in Loop: Header=BB9_150 Depth=1
	s_or_b64 exec, exec, s[4:5]
.LBB9_210:                              ;   in Loop: Header=BB9_150 Depth=1
	s_or_b64 exec, exec, s[2:3]
	v_cvt_f32_f16_sdwa v4, v4 dst_sel:DWORD dst_unused:UNUSED_PAD src0_sel:WORD_1
	v_mul_f32_e32 v4, v16, v4
	v_rndne_f32_e32 v4, v4
	v_cmp_nle_f32_e32 vcc, s8, v4
	s_and_saveexec_b64 s[2:3], vcc
	s_cbranch_execz .LBB9_149
; %bb.211:                              ;   in Loop: Header=BB9_150 Depth=1
	v_cmp_nge_f32_e32 vcc, s9, v4
	v_bfrev_b32_e32 v3, 1
	s_and_saveexec_b64 s[4:5], vcc
	s_cbranch_execz .LBB9_148
; %bb.212:                              ;   in Loop: Header=BB9_150 Depth=1
	v_cvt_i32_f32_e32 v3, v4
	s_branch .LBB9_148
.LBB9_213:
	s_endpgm
	.section	.rodata,"a",@progbits
	.p2align	6, 0x0
	.amdhsa_kernel _ZN4vllm36dynamic_scaled_int8_azp_quant_kernelIN3c104HalfEfiEEvPKT_PaPT0_PT1_i
		.amdhsa_group_segment_fixed_size 40
		.amdhsa_private_segment_fixed_size 0
		.amdhsa_kernarg_size 296
		.amdhsa_user_sgpr_count 6
		.amdhsa_user_sgpr_private_segment_buffer 1
		.amdhsa_user_sgpr_dispatch_ptr 0
		.amdhsa_user_sgpr_queue_ptr 0
		.amdhsa_user_sgpr_kernarg_segment_ptr 1
		.amdhsa_user_sgpr_dispatch_id 0
		.amdhsa_user_sgpr_flat_scratch_init 0
		.amdhsa_user_sgpr_private_segment_size 0
		.amdhsa_uses_dynamic_stack 0
		.amdhsa_system_sgpr_private_segment_wavefront_offset 0
		.amdhsa_system_sgpr_workgroup_id_x 1
		.amdhsa_system_sgpr_workgroup_id_y 0
		.amdhsa_system_sgpr_workgroup_id_z 0
		.amdhsa_system_sgpr_workgroup_info 0
		.amdhsa_system_vgpr_workitem_id 0
		.amdhsa_next_free_vgpr 62
		.amdhsa_next_free_sgpr 96
		.amdhsa_reserve_vcc 1
		.amdhsa_reserve_flat_scratch 0
		.amdhsa_float_round_mode_32 0
		.amdhsa_float_round_mode_16_64 0
		.amdhsa_float_denorm_mode_32 3
		.amdhsa_float_denorm_mode_16_64 3
		.amdhsa_dx10_clamp 1
		.amdhsa_ieee_mode 1
		.amdhsa_fp16_overflow 0
		.amdhsa_exception_fp_ieee_invalid_op 0
		.amdhsa_exception_fp_denorm_src 0
		.amdhsa_exception_fp_ieee_div_zero 0
		.amdhsa_exception_fp_ieee_overflow 0
		.amdhsa_exception_fp_ieee_underflow 0
		.amdhsa_exception_fp_ieee_inexact 0
		.amdhsa_exception_int_div_zero 0
	.end_amdhsa_kernel
	.section	.text._ZN4vllm36dynamic_scaled_int8_azp_quant_kernelIN3c104HalfEfiEEvPKT_PaPT0_PT1_i,"axG",@progbits,_ZN4vllm36dynamic_scaled_int8_azp_quant_kernelIN3c104HalfEfiEEvPKT_PaPT0_PT1_i,comdat
.Lfunc_end9:
	.size	_ZN4vllm36dynamic_scaled_int8_azp_quant_kernelIN3c104HalfEfiEEvPKT_PaPT0_PT1_i, .Lfunc_end9-_ZN4vllm36dynamic_scaled_int8_azp_quant_kernelIN3c104HalfEfiEEvPKT_PaPT0_PT1_i
                                        ; -- End function
	.set _ZN4vllm36dynamic_scaled_int8_azp_quant_kernelIN3c104HalfEfiEEvPKT_PaPT0_PT1_i.num_vgpr, 62
	.set _ZN4vllm36dynamic_scaled_int8_azp_quant_kernelIN3c104HalfEfiEEvPKT_PaPT0_PT1_i.num_agpr, 0
	.set _ZN4vllm36dynamic_scaled_int8_azp_quant_kernelIN3c104HalfEfiEEvPKT_PaPT0_PT1_i.numbered_sgpr, 96
	.set _ZN4vllm36dynamic_scaled_int8_azp_quant_kernelIN3c104HalfEfiEEvPKT_PaPT0_PT1_i.num_named_barrier, 0
	.set _ZN4vllm36dynamic_scaled_int8_azp_quant_kernelIN3c104HalfEfiEEvPKT_PaPT0_PT1_i.private_seg_size, 0
	.set _ZN4vllm36dynamic_scaled_int8_azp_quant_kernelIN3c104HalfEfiEEvPKT_PaPT0_PT1_i.uses_vcc, 1
	.set _ZN4vllm36dynamic_scaled_int8_azp_quant_kernelIN3c104HalfEfiEEvPKT_PaPT0_PT1_i.uses_flat_scratch, 0
	.set _ZN4vllm36dynamic_scaled_int8_azp_quant_kernelIN3c104HalfEfiEEvPKT_PaPT0_PT1_i.has_dyn_sized_stack, 0
	.set _ZN4vllm36dynamic_scaled_int8_azp_quant_kernelIN3c104HalfEfiEEvPKT_PaPT0_PT1_i.has_recursion, 0
	.set _ZN4vllm36dynamic_scaled_int8_azp_quant_kernelIN3c104HalfEfiEEvPKT_PaPT0_PT1_i.has_indirect_call, 0
	.section	.AMDGPU.csdata,"",@progbits
; Kernel info:
; codeLenInByte = 11188
; TotalNumSgprs: 100
; NumVgprs: 62
; ScratchSize: 0
; MemoryBound: 0
; FloatMode: 240
; IeeeMode: 1
; LDSByteSize: 40 bytes/workgroup (compile time only)
; SGPRBlocks: 12
; VGPRBlocks: 15
; NumSGPRsForWavesPerEU: 100
; NumVGPRsForWavesPerEU: 62
; Occupancy: 4
; WaveLimiterHint : 0
; COMPUTE_PGM_RSRC2:SCRATCH_EN: 0
; COMPUTE_PGM_RSRC2:USER_SGPR: 6
; COMPUTE_PGM_RSRC2:TRAP_HANDLER: 0
; COMPUTE_PGM_RSRC2:TGID_X_EN: 1
; COMPUTE_PGM_RSRC2:TGID_Y_EN: 0
; COMPUTE_PGM_RSRC2:TGID_Z_EN: 0
; COMPUTE_PGM_RSRC2:TIDIG_COMP_CNT: 0
	.section	.text._ZN4vllm32dynamic_scaled_int8_quant_kernelIN3c108BFloat16EfEEvPKT_PaPT0_i,"axG",@progbits,_ZN4vllm32dynamic_scaled_int8_quant_kernelIN3c108BFloat16EfEEvPKT_PaPT0_i,comdat
	.protected	_ZN4vllm32dynamic_scaled_int8_quant_kernelIN3c108BFloat16EfEEvPKT_PaPT0_i ; -- Begin function _ZN4vllm32dynamic_scaled_int8_quant_kernelIN3c108BFloat16EfEEvPKT_PaPT0_i
	.globl	_ZN4vllm32dynamic_scaled_int8_quant_kernelIN3c108BFloat16EfEEvPKT_PaPT0_i
	.p2align	8
	.type	_ZN4vllm32dynamic_scaled_int8_quant_kernelIN3c108BFloat16EfEEvPKT_PaPT0_i,@function
_ZN4vllm32dynamic_scaled_int8_quant_kernelIN3c108BFloat16EfEEvPKT_PaPT0_i: ; @_ZN4vllm32dynamic_scaled_int8_quant_kernelIN3c108BFloat16EfEEvPKT_PaPT0_i
; %bb.0:
	s_load_dword s50, s[4:5], 0x18
	s_load_dword s0, s[4:5], 0x2c
	s_load_dwordx2 s[34:35], s[4:5], 0x0
	s_mov_b32 s15, 0
	s_waitcnt lgkmcnt(0)
	s_ashr_i32 s1, s50, 31
	s_and_b32 s33, s0, 0xffff
	s_mul_hi_u32 s0, s50, s6
	s_mul_i32 s1, s1, s6
	s_add_i32 s39, s0, s1
	s_mul_i32 s38, s50, s6
	s_lshl_b64 s[36:37], s[38:39], 1
	s_add_u32 s51, s34, s36
	s_addc_u32 s52, s35, s37
	s_and_b32 s14, s51, 31
	s_cmp_lg_u64 s[14:15], 0
	s_cselect_b64 s[0:1], -1, 0
	s_and_b32 s2, s50, 15
	s_cmp_lg_u32 s2, 0
	s_cselect_b64 s[2:3], -1, 0
	s_or_b64 s[12:13], s[2:3], s[0:1]
	s_and_b64 vcc, exec, s[12:13]
	s_cbranch_vccz .LBB10_14
; %bb.1:
	s_sub_i32 s0, 0, s51
	s_bfe_u32 s0, s0, 0x40001
	s_min_i32 s0, s0, s50
	v_cmp_gt_i32_e32 vcc, s0, v0
	v_mov_b32_e32 v4, 0
	s_and_saveexec_b64 s[2:3], vcc
	s_cbranch_execz .LBB10_5
; %bb.2:
	s_add_u32 s1, s34, s36
	v_lshlrev_b32_e32 v1, 1, v0
	s_addc_u32 s7, s35, s37
	v_mov_b32_e32 v2, s7
	v_add_co_u32_e32 v1, vcc, s1, v1
	v_mov_b32_e32 v4, 0
	v_addc_co_u32_e32 v2, vcc, 0, v2, vcc
	s_lshl_b32 s1, s33, 1
	s_mov_b64 s[8:9], 0
	v_mov_b32_e32 v3, v0
.LBB10_3:                               ; =>This Inner Loop Header: Depth=1
	global_load_ushort v5, v[1:2], off
	v_add_co_u32_e32 v1, vcc, s1, v1
	v_add_u32_e32 v3, s33, v3
	v_addc_co_u32_e32 v2, vcc, 0, v2, vcc
	v_max_f32_e32 v4, v4, v4
	v_cmp_le_i32_e32 vcc, s0, v3
	s_or_b64 s[8:9], vcc, s[8:9]
	s_waitcnt vmcnt(0)
	v_lshlrev_b32_e32 v5, 16, v5
	v_max_f32_e64 v5, |v5|, |v5|
	v_max_f32_e32 v4, v4, v5
	s_andn2_b64 exec, exec, s[8:9]
	s_cbranch_execnz .LBB10_3
; %bb.4:
	s_or_b64 exec, exec, s[8:9]
.LBB10_5:
	s_or_b64 exec, exec, s[2:3]
	s_sub_i32 s7, s50, s0
	s_ashr_i32 s2, s7, 31
	s_lshr_b32 s2, s2, 28
	s_add_i32 s2, s7, s2
	s_ashr_i32 s10, s2, 4
	s_ashr_i32 s1, s0, 31
	v_cmp_gt_i32_e32 vcc, s10, v0
	s_and_saveexec_b64 s[2:3], vcc
	s_cbranch_execz .LBB10_9
; %bb.6:
	s_lshl_b64 s[8:9], s[0:1], 1
	s_add_u32 s8, s34, s8
	s_addc_u32 s9, s35, s9
	s_add_u32 s8, s8, s36
	v_lshlrev_b32_e32 v1, 5, v0
	s_addc_u32 s9, s9, s37
	v_mov_b32_e32 v2, s9
	v_add_co_u32_e32 v1, vcc, s8, v1
	v_addc_co_u32_e32 v2, vcc, 0, v2, vcc
	s_lshl_b32 s11, s33, 5
	s_mov_b64 s[8:9], 0
	v_mov_b32_e32 v3, v0
.LBB10_7:                               ; =>This Inner Loop Header: Depth=1
	global_load_dwordx4 v[5:8], v[1:2], off
	global_load_dwordx4 v[9:12], v[1:2], off offset:16
	v_add_co_u32_e32 v1, vcc, s11, v1
	v_add_u32_e32 v3, s33, v3
	v_addc_co_u32_e32 v2, vcc, 0, v2, vcc
	v_cmp_le_i32_e32 vcc, s10, v3
	s_or_b64 s[8:9], vcc, s[8:9]
	s_waitcnt vmcnt(1)
	v_lshlrev_b32_e32 v13, 16, v5
	v_and_b32_e32 v5, 0xffff0000, v5
	v_lshlrev_b32_e32 v14, 16, v6
	v_and_b32_e32 v6, 0xffff0000, v6
	v_max3_f32 v4, v4, |v13|, |v5|
	v_lshlrev_b32_e32 v15, 16, v7
	v_and_b32_e32 v7, 0xffff0000, v7
	v_max3_f32 v4, v4, |v14|, |v6|
	;; [unrolled: 3-line block ×3, first 2 shown]
	s_waitcnt vmcnt(0)
	v_lshlrev_b32_e32 v17, 16, v9
	v_and_b32_e32 v9, 0xffff0000, v9
	v_max3_f32 v4, v4, |v16|, |v8|
	v_lshlrev_b32_e32 v18, 16, v10
	v_and_b32_e32 v10, 0xffff0000, v10
	v_max3_f32 v4, v4, |v17|, |v9|
	;; [unrolled: 3-line block ×4, first 2 shown]
	v_max3_f32 v4, v4, |v20|, |v12|
	s_andn2_b64 exec, exec, s[8:9]
	s_cbranch_execnz .LBB10_7
; %bb.8:
	s_or_b64 exec, exec, s[8:9]
.LBB10_9:
	s_or_b64 exec, exec, s[2:3]
	v_lshl_add_u32 v1, s10, 4, v0
	v_cmp_gt_i32_e32 vcc, s7, v1
	s_and_saveexec_b64 s[2:3], vcc
	s_cbranch_execz .LBB10_13
; %bb.10:
	s_lshl_b64 s[0:1], s[0:1], 1
	s_add_u32 s0, s36, s0
	s_addc_u32 s1, s37, s1
	v_ashrrev_i32_e32 v2, 31, v1
	v_lshlrev_b64 v[2:3], 1, v[1:2]
	s_add_u32 s0, s34, s0
	s_addc_u32 s1, s35, s1
	v_mov_b32_e32 v5, s1
	v_add_co_u32_e32 v2, vcc, s0, v2
	v_addc_co_u32_e32 v3, vcc, v5, v3, vcc
	s_lshl_b32 s8, s33, 1
	s_mov_b64 s[0:1], 0
.LBB10_11:                              ; =>This Inner Loop Header: Depth=1
	global_load_ushort v5, v[2:3], off
	v_add_co_u32_e32 v2, vcc, s8, v2
	v_add_u32_e32 v1, s33, v1
	v_addc_co_u32_e32 v3, vcc, 0, v3, vcc
	v_max_f32_e32 v4, v4, v4
	v_cmp_le_i32_e32 vcc, s7, v1
	s_or_b64 s[0:1], vcc, s[0:1]
	s_waitcnt vmcnt(0)
	v_lshlrev_b32_e32 v5, 16, v5
	v_max_f32_e64 v5, |v5|, |v5|
	v_max_f32_e32 v4, v4, v5
	s_andn2_b64 exec, exec, s[0:1]
	s_cbranch_execnz .LBB10_11
; %bb.12:
	s_or_b64 exec, exec, s[0:1]
.LBB10_13:
	s_or_b64 exec, exec, s[2:3]
	s_branch .LBB10_20
.LBB10_14:
                                        ; implicit-def: $vgpr4
	s_cbranch_execz .LBB10_20
; %bb.15:
	s_ashr_i32 s7, s50, 4
	v_cmp_gt_i32_e32 vcc, s7, v0
	v_mov_b32_e32 v4, 0
	s_and_saveexec_b64 s[0:1], vcc
	s_cbranch_execz .LBB10_19
; %bb.16:
	s_add_u32 s2, s34, s36
	v_lshlrev_b32_e32 v1, 5, v0
	s_addc_u32 s3, s35, s37
	v_mov_b32_e32 v2, s3
	v_add_co_u32_e32 v1, vcc, s2, v1
	v_mov_b32_e32 v4, 0
	v_addc_co_u32_e32 v2, vcc, 0, v2, vcc
	s_lshl_b32 s8, s33, 5
	s_mov_b64 s[2:3], 0
	v_mov_b32_e32 v3, v0
.LBB10_17:                              ; =>This Inner Loop Header: Depth=1
	global_load_dwordx4 v[5:8], v[1:2], off
	global_load_dwordx4 v[9:12], v[1:2], off offset:16
	v_add_co_u32_e32 v1, vcc, s8, v1
	v_add_u32_e32 v3, s33, v3
	v_addc_co_u32_e32 v2, vcc, 0, v2, vcc
	v_cmp_le_i32_e32 vcc, s7, v3
	s_or_b64 s[2:3], vcc, s[2:3]
	s_waitcnt vmcnt(1)
	v_lshlrev_b32_e32 v13, 16, v5
	v_and_b32_e32 v5, 0xffff0000, v5
	v_lshlrev_b32_e32 v14, 16, v6
	v_and_b32_e32 v6, 0xffff0000, v6
	v_max3_f32 v4, v4, |v13|, |v5|
	v_lshlrev_b32_e32 v15, 16, v7
	v_and_b32_e32 v7, 0xffff0000, v7
	v_max3_f32 v4, v4, |v14|, |v6|
	;; [unrolled: 3-line block ×3, first 2 shown]
	s_waitcnt vmcnt(0)
	v_lshlrev_b32_e32 v17, 16, v9
	v_and_b32_e32 v9, 0xffff0000, v9
	v_max3_f32 v4, v4, |v16|, |v8|
	v_lshlrev_b32_e32 v18, 16, v10
	v_and_b32_e32 v10, 0xffff0000, v10
	v_max3_f32 v4, v4, |v17|, |v9|
	;; [unrolled: 3-line block ×4, first 2 shown]
	v_max3_f32 v4, v4, |v20|, |v12|
	s_andn2_b64 exec, exec, s[2:3]
	s_cbranch_execnz .LBB10_17
; %bb.18:
	s_or_b64 exec, exec, s[2:3]
.LBB10_19:
	s_or_b64 exec, exec, s[0:1]
.LBB10_20:
	v_mbcnt_lo_u32_b32 v1, -1, 0
	v_mbcnt_hi_u32_b32 v1, -1, v1
	v_and_b32_e32 v2, 63, v1
	v_cmp_ne_u32_e32 vcc, 63, v2
	v_addc_co_u32_e32 v3, vcc, 0, v1, vcc
	v_lshlrev_b32_e32 v3, 2, v3
	ds_bpermute_b32 v3, v3, v4
	v_and_b32_e32 v5, 0x3c0, v0
	v_sub_u32_e64 v5, s33, v5 clamp
	v_add_u32_e32 v6, 1, v1
	v_cmp_gt_u32_e64 s[0:1], 62, v2
	s_waitcnt lgkmcnt(0)
	v_cmp_lt_f32_e32 vcc, v4, v3
	v_cndmask_b32_e32 v3, v4, v3, vcc
	v_cmp_lt_u32_e32 vcc, v6, v5
	v_cndmask_b32_e64 v6, 0, 2, s[0:1]
	v_cndmask_b32_e32 v3, v4, v3, vcc
	v_add_lshl_u32 v6, v6, v1, 2
	ds_bpermute_b32 v6, v6, v3
	v_add_u32_e32 v7, 2, v1
	v_cmp_gt_u32_e64 s[2:3], 60, v2
	v_cmp_gt_u32_e64 s[8:9], 56, v2
	;; [unrolled: 1-line block ×3, first 2 shown]
	s_waitcnt lgkmcnt(0)
	v_cmp_lt_f32_e64 s[0:1], v3, v6
	v_cndmask_b32_e64 v6, v3, v6, s[0:1]
	v_cmp_lt_u32_e64 s[0:1], v7, v5
	v_cndmask_b32_e64 v3, v3, v6, s[0:1]
	v_cndmask_b32_e64 v6, 0, 4, s[2:3]
	v_add_lshl_u32 v6, v6, v1, 2
	ds_bpermute_b32 v6, v6, v3
	v_add_u32_e32 v7, 4, v1
	v_cndmask_b32_e64 v2, 0, 16, s[10:11]
	v_add_lshl_u32 v2, v2, v1, 2
	s_or_b64 s[0:1], vcc, s[0:1]
	s_waitcnt lgkmcnt(0)
	v_cmp_lt_f32_e64 s[2:3], v3, v6
	v_cndmask_b32_e64 v6, v3, v6, s[2:3]
	v_cmp_lt_u32_e64 s[2:3], v7, v5
	v_cndmask_b32_e64 v3, v3, v6, s[2:3]
	v_cndmask_b32_e64 v6, 0, 8, s[8:9]
	v_add_lshl_u32 v6, v6, v1, 2
	ds_bpermute_b32 v6, v6, v3
	v_add_u32_e32 v7, 8, v1
	s_or_b64 s[0:1], s[2:3], s[0:1]
	s_waitcnt lgkmcnt(0)
	v_cmp_lt_f32_e64 s[8:9], v3, v6
	v_cndmask_b32_e64 v6, v3, v6, s[8:9]
	v_cmp_lt_u32_e64 s[8:9], v7, v5
	v_cndmask_b32_e64 v3, v3, v6, s[8:9]
	ds_bpermute_b32 v2, v2, v3
	v_add_u32_e32 v6, 16, v1
	s_or_b64 s[0:1], s[8:9], s[0:1]
	v_add_u32_e32 v7, 32, v1
	s_waitcnt lgkmcnt(0)
	v_cmp_lt_f32_e32 vcc, v3, v2
	v_cndmask_b32_e32 v2, v3, v2, vcc
	v_cmp_lt_u32_e32 vcc, v6, v5
	v_cndmask_b32_e32 v2, v3, v2, vcc
	v_lshlrev_b32_e32 v3, 2, v1
	v_or_b32_e32 v6, 0x80, v3
	ds_bpermute_b32 v6, v6, v2
	s_or_b64 s[2:3], vcc, s[0:1]
	v_cmp_lt_u32_e32 vcc, v7, v5
	s_waitcnt lgkmcnt(0)
	v_cmp_lt_f32_e64 s[0:1], v2, v6
	s_and_b64 s[0:1], vcc, s[0:1]
	v_cndmask_b32_e64 v2, v2, v6, s[0:1]
	s_or_b64 vcc, vcc, s[2:3]
	v_cndmask_b32_e32 v2, v4, v2, vcc
	v_cmp_eq_u32_e32 vcc, 0, v1
	s_and_saveexec_b64 s[0:1], vcc
; %bb.21:
	v_lshrrev_b32_e32 v4, 4, v0
	v_and_b32_e32 v4, 60, v4
	ds_write_b32 v4, v2
; %bb.22:
	s_or_b64 exec, exec, s[0:1]
	v_cmp_gt_u32_e32 vcc, 4, v0
	s_waitcnt lgkmcnt(0)
	s_barrier
	s_and_saveexec_b64 s[8:9], vcc
	s_cbranch_execz .LBB10_24
; %bb.23:
	ds_read_b32 v2, v3
	v_and_b32_e32 v4, 3, v1
	v_cmp_ne_u32_e32 vcc, 3, v4
	v_addc_co_u32_e32 v1, vcc, 0, v1, vcc
	v_lshlrev_b32_e32 v1, 2, v1
	s_waitcnt lgkmcnt(0)
	ds_bpermute_b32 v1, v1, v2
	s_add_i32 s0, s33, 63
	s_lshr_b32 s0, s0, 6
	v_add_u32_e32 v5, 1, v4
	v_or_b32_e32 v3, 8, v3
	s_waitcnt lgkmcnt(0)
	v_cmp_lt_f32_e32 vcc, v2, v1
	v_cndmask_b32_e32 v1, v2, v1, vcc
	v_cmp_gt_u32_e32 vcc, s0, v5
	v_cndmask_b32_e32 v5, v2, v1, vcc
	ds_bpermute_b32 v3, v3, v5
	v_add_u32_e32 v4, 2, v4
	v_cmp_gt_u32_e64 s[0:1], s0, v4
	s_waitcnt lgkmcnt(0)
	v_cmp_lt_f32_e64 s[2:3], v1, v3
	s_and_b64 s[0:1], s[0:1], s[2:3]
	v_cndmask_b32_e64 v1, v1, v3, s[0:1]
	v_cndmask_b32_e32 v2, v2, v1, vcc
.LBB10_24:
	s_or_b64 exec, exec, s[8:9]
	s_load_dwordx2 s[40:41], s[4:5], 0x8
	v_cmp_eq_u32_e32 vcc, 0, v0
	s_and_saveexec_b64 s[0:1], vcc
	s_cbranch_execz .LBB10_26
; %bb.25:
	s_mov_b32 s8, 0x42fe0000
	v_div_scale_f32 v1, s[2:3], s8, s8, v2
	v_div_scale_f32 v3, vcc, v2, s8, v2
	s_load_dwordx2 s[2:3], s[4:5], 0x10
	s_mov_b32 s7, s15
	s_lshl_b64 s[4:5], s[6:7], 2
	s_waitcnt lgkmcnt(0)
	s_add_u32 s2, s2, s4
	s_addc_u32 s3, s3, s5
	v_rcp_f32_e32 v4, v1
	v_fma_f32 v5, -v1, v4, 1.0
	v_fmac_f32_e32 v4, v5, v4
	v_mul_f32_e32 v5, v3, v4
	v_fma_f32 v6, -v1, v5, v3
	v_fmac_f32_e32 v5, v6, v4
	v_fma_f32 v1, -v1, v5, v3
	v_div_fmas_f32 v1, v1, v4, v5
	v_mov_b32_e32 v3, 0
	ds_write_b32 v3, v2 offset:16
	v_div_fixup_f32 v1, v1, s8, v2
	global_store_dword v3, v1, s[2:3]
.LBB10_26:
	s_or_b64 exec, exec, s[0:1]
	v_mov_b32_e32 v1, 0
	s_waitcnt vmcnt(0) lgkmcnt(0)
	s_barrier
	ds_read_b32 v1, v1 offset:16
	s_mov_b32 s4, 0x42fe0000
	s_mov_b64 s[2:3], -1
	s_waitcnt lgkmcnt(0)
	v_div_scale_f32 v2, s[0:1], v1, v1, s4
	v_div_scale_f32 v3, vcc, s4, v1, s4
	v_cmp_neq_f32_e64 s[0:1], 0, v1
	v_rcp_f32_e32 v4, v2
	v_fma_f32 v5, -v2, v4, 1.0
	v_fmac_f32_e32 v4, v5, v4
	v_mul_f32_e32 v5, v3, v4
	v_fma_f32 v6, -v2, v5, v3
	v_fmac_f32_e32 v5, v6, v4
	v_fma_f32 v2, -v2, v5, v3
	v_div_fmas_f32 v2, v2, v4, v5
	s_and_b64 vcc, exec, s[12:13]
	v_div_fixup_f32 v2, v2, v1, s4
	v_cndmask_b32_e64 v9, 0, v2, s[0:1]
	s_cbranch_vccz .LBB10_47
; %bb.27:
	s_add_u32 s44, s40, s38
	s_addc_u32 s45, s41, s39
	s_sub_i32 s0, 0, s51
	s_bfe_u32 s0, s0, 0x40001
	s_min_i32 s42, s0, s50
	v_cmp_gt_i32_e32 vcc, s42, v0
	s_and_saveexec_b64 s[2:3], vcc
	s_cbranch_execz .LBB10_35
; %bb.28:
	v_add_u32_e32 v1, 1, v0
	v_max_i32_e32 v1, s42, v1
	s_and_b32 s0, s33, 0xffff
	v_sub_u32_e32 v3, v1, v0
	s_cmp_eq_u32 s0, 1
	v_cmp_lt_u32_e32 vcc, 1, v3
	s_cselect_b64 s[0:1], -1, 0
	s_and_b64 s[6:7], vcc, s[0:1]
	s_mov_b64 s[4:5], -1
	v_mov_b32_e32 v1, v0
	s_and_saveexec_b64 s[0:1], s[6:7]
	s_cbranch_execz .LBB10_32
; %bb.29:
	v_and_b32_e32 v4, -2, v3
	s_mov_b64 s[4:5], 0
	v_mov_b32_e32 v2, 0
	v_mov_b32_e32 v5, s52
	s_mov_b32 s6, 0x42fe0000
	v_mov_b32_e32 v6, 0x42fe0000
	s_mov_b32 s7, 0xc3000000
	v_mov_b32_e32 v7, 0xc3000000
	v_mov_b32_e32 v1, v0
	;; [unrolled: 1-line block ×3, first 2 shown]
.LBB10_30:                              ; =>This Inner Loop Header: Depth=1
	v_lshlrev_b64 v[10:11], 1, v[1:2]
	v_add_u32_e32 v8, -2, v8
	v_add_co_u32_e32 v10, vcc, s51, v10
	v_addc_co_u32_e32 v11, vcc, v5, v11, vcc
	global_load_dword v10, v[10:11], off
	s_waitcnt vmcnt(0)
	v_lshlrev_b32_e32 v11, 16, v10
	v_and_b32_e32 v10, 0xffff0000, v10
	v_mul_f32_e32 v10, v9, v10
	v_mul_f32_e32 v11, v9, v11
	v_rndne_f32_e32 v10, v10
	v_rndne_f32_e32 v11, v11
	v_cmp_nlt_f32_e32 vcc, s6, v10
	v_cndmask_b32_e32 v12, v6, v10, vcc
	v_cmp_nlt_f32_e32 vcc, s6, v11
	v_cndmask_b32_e32 v13, v6, v11, vcc
	v_cmp_ngt_f32_e32 vcc, s7, v11
	v_cndmask_b32_e32 v11, v7, v13, vcc
	v_cmp_ngt_f32_e32 vcc, s7, v10
	v_cndmask_b32_e32 v10, v7, v12, vcc
	v_cvt_i32_f32_sdwa v10, v10 dst_sel:BYTE_1 dst_unused:UNUSED_PAD src0_sel:DWORD
	v_cvt_i32_f32_e32 v11, v11
	v_cmp_eq_u32_e32 vcc, 0, v8
	s_or_b64 s[4:5], vcc, s[4:5]
	v_or_b32_sdwa v10, v11, v10 dst_sel:DWORD dst_unused:UNUSED_PAD src0_sel:BYTE_0 src1_sel:DWORD
	global_store_short v1, v10, s[44:45]
	v_add_u32_e32 v1, 2, v1
	s_andn2_b64 exec, exec, s[4:5]
	s_cbranch_execnz .LBB10_30
; %bb.31:
	s_or_b64 exec, exec, s[4:5]
	v_cmp_ne_u32_e32 vcc, v3, v4
	v_add_u32_e32 v1, v0, v4
	s_orn2_b64 s[4:5], vcc, exec
.LBB10_32:
	s_or_b64 exec, exec, s[0:1]
	s_and_b64 exec, exec, s[4:5]
	s_cbranch_execz .LBB10_35
; %bb.33:
	v_mov_b32_e32 v2, 0
	v_lshlrev_b64 v[3:4], 1, v[1:2]
	s_add_u32 s0, s34, s36
	s_addc_u32 s1, s35, s37
	v_mov_b32_e32 v5, s1
	v_add_co_u32_e32 v3, vcc, s0, v3
	v_addc_co_u32_e32 v4, vcc, v5, v4, vcc
	s_lshl_b32 s6, s33, 1
	s_mov_b64 s[4:5], 0
	v_mov_b32_e32 v5, s45
	s_mov_b32 s7, 0x42fe0000
	v_mov_b32_e32 v6, 0x42fe0000
	s_mov_b32 s8, 0xc3000000
	v_mov_b32_e32 v7, 0xc3000000
.LBB10_34:                              ; =>This Inner Loop Header: Depth=1
	global_load_ushort v8, v[3:4], off
	v_add_co_u32_e32 v10, vcc, s44, v1
	v_addc_co_u32_e32 v11, vcc, v5, v2, vcc
	v_add_co_u32_e32 v1, vcc, s33, v1
	v_addc_co_u32_e32 v2, vcc, 0, v2, vcc
	;; [unrolled: 2-line block ×3, first 2 shown]
	v_cmp_le_i32_e32 vcc, s42, v1
	s_or_b64 s[4:5], vcc, s[4:5]
	s_waitcnt vmcnt(0)
	v_lshlrev_b32_e32 v8, 16, v8
	v_mul_f32_e32 v8, v9, v8
	v_rndne_f32_e32 v8, v8
	v_cmp_nlt_f32_e64 s[0:1], s7, v8
	v_cndmask_b32_e64 v12, v6, v8, s[0:1]
	v_cmp_ngt_f32_e64 s[0:1], s8, v8
	v_cndmask_b32_e64 v8, v7, v12, s[0:1]
	v_cvt_i32_f32_e32 v8, v8
	global_store_byte v[10:11], v8, off
	s_andn2_b64 exec, exec, s[4:5]
	s_cbranch_execnz .LBB10_34
.LBB10_35:
	s_or_b64 exec, exec, s[2:3]
	s_sub_i32 s53, s50, s42
	s_ashr_i32 s0, s53, 31
	s_lshr_b32 s0, s0, 28
	s_add_i32 s0, s53, s0
	s_ashr_i32 s54, s0, 4
	s_ashr_i32 s43, s42, 31
	v_cmp_gt_i32_e32 vcc, s54, v0
	s_and_saveexec_b64 s[46:47], vcc
	s_cbranch_execz .LBB10_38
; %bb.36:
	s_add_u32 s0, s42, s38
	s_addc_u32 s1, s43, s39
	s_add_u32 s0, s40, s0
	v_lshlrev_b32_e32 v1, 4, v0
	s_addc_u32 s1, s41, s1
	v_mov_b32_e32 v2, s1
	v_add_co_u32_e32 v1, vcc, s0, v1
	s_lshl_b32 s55, s33, 4
	s_lshl_b64 s[0:1], s[42:43], 1
	s_add_u32 s0, s34, s0
	v_addc_co_u32_e32 v2, vcc, 0, v2, vcc
	s_addc_u32 s1, s35, s1
	v_add_co_u32_e32 v1, vcc, 7, v1
	s_add_u32 s0, s0, s36
	v_addc_co_u32_e32 v2, vcc, 0, v2, vcc
	v_lshlrev_b32_e32 v3, 5, v0
	s_addc_u32 s1, s1, s37
	v_mov_b32_e32 v4, s1
	v_add_co_u32_e32 v3, vcc, s0, v3
	v_addc_co_u32_e32 v4, vcc, 0, v4, vcc
	s_lshl_b32 s56, s33, 5
	s_mov_b64 s[48:49], 0
	s_mov_b32 s57, 0x42fe0000
	v_mov_b32_e32 v5, 0x42fe0000
	s_mov_b32 s58, 0xc3000000
	v_mov_b32_e32 v6, 0xc3000000
	v_mov_b32_e32 v7, v0
.LBB10_37:                              ; =>This Inner Loop Header: Depth=1
	global_load_dwordx4 v[10:13], v[3:4], off
	global_load_dwordx4 v[14:17], v[3:4], off offset:16
	v_add_co_u32_e64 v3, s[30:31], s56, v3
	v_add_u32_e32 v7, s33, v7
	v_addc_co_u32_e64 v4, s[30:31], 0, v4, s[30:31]
	v_cmp_le_i32_e64 s[30:31], s54, v7
	s_or_b64 s[48:49], s[30:31], s[48:49]
	s_waitcnt vmcnt(1)
	v_lshlrev_b32_e32 v8, 16, v10
	v_mul_f32_e32 v8, v9, v8
	v_rndne_f32_e32 v8, v8
	v_and_b32_e32 v10, 0xffff0000, v10
	v_cmp_nlt_f32_e32 vcc, s57, v8
	v_cndmask_b32_e32 v25, v5, v8, vcc
	v_cmp_ngt_f32_e32 vcc, s58, v8
	v_mul_f32_e32 v8, v9, v10
	v_rndne_f32_e32 v8, v8
	v_lshlrev_b32_e32 v18, 16, v11
	v_cmp_nlt_f32_e64 s[0:1], s57, v8
	v_cndmask_b32_e64 v10, v5, v8, s[0:1]
	v_cmp_ngt_f32_e64 s[0:1], s58, v8
	v_mul_f32_e32 v8, v9, v18
	v_rndne_f32_e32 v8, v8
	v_and_b32_e32 v11, 0xffff0000, v11
	v_cmp_nlt_f32_e64 s[2:3], s57, v8
	v_cndmask_b32_e64 v18, v5, v8, s[2:3]
	v_cmp_ngt_f32_e64 s[2:3], s58, v8
	v_mul_f32_e32 v8, v9, v11
	v_rndne_f32_e32 v8, v8
	v_lshlrev_b32_e32 v19, 16, v12
	v_cmp_nlt_f32_e64 s[4:5], s57, v8
	v_cndmask_b32_e64 v11, v5, v8, s[4:5]
	v_cmp_ngt_f32_e64 s[4:5], s58, v8
	v_mul_f32_e32 v8, v9, v19
	v_rndne_f32_e32 v8, v8
	v_and_b32_e32 v12, 0xffff0000, v12
	v_cmp_nlt_f32_e64 s[6:7], s57, v8
	v_cndmask_b32_e64 v19, v5, v8, s[6:7]
	v_cmp_ngt_f32_e64 s[6:7], s58, v8
	;; [unrolled: 12-line block ×3, first 2 shown]
	v_mul_f32_e32 v8, v9, v13
	v_rndne_f32_e32 v8, v8
	s_waitcnt vmcnt(0)
	v_lshlrev_b32_e32 v21, 16, v14
	v_cmp_nlt_f32_e64 s[12:13], s57, v8
	v_cndmask_b32_e64 v13, v5, v8, s[12:13]
	v_cmp_ngt_f32_e64 s[12:13], s58, v8
	v_mul_f32_e32 v8, v9, v21
	v_rndne_f32_e32 v8, v8
	v_and_b32_e32 v14, 0xffff0000, v14
	v_cmp_nlt_f32_e64 s[14:15], s57, v8
	v_cndmask_b32_e64 v21, v5, v8, s[14:15]
	v_cmp_ngt_f32_e64 s[14:15], s58, v8
	v_mul_f32_e32 v8, v9, v14
	v_rndne_f32_e32 v8, v8
	v_lshlrev_b32_e32 v22, 16, v15
	v_cmp_nlt_f32_e64 s[16:17], s57, v8
	v_cndmask_b32_e64 v14, v5, v8, s[16:17]
	v_cmp_ngt_f32_e64 s[16:17], s58, v8
	v_mul_f32_e32 v8, v9, v22
	v_rndne_f32_e32 v8, v8
	v_and_b32_e32 v15, 0xffff0000, v15
	v_cmp_nlt_f32_e64 s[18:19], s57, v8
	v_cndmask_b32_e64 v22, v5, v8, s[18:19]
	v_cmp_ngt_f32_e64 s[18:19], s58, v8
	v_mul_f32_e32 v8, v9, v15
	v_rndne_f32_e32 v8, v8
	;; [unrolled: 12-line block ×4, first 2 shown]
	v_cmp_nlt_f32_e64 s[28:29], s57, v8
	v_cndmask_b32_e64 v17, v5, v8, s[28:29]
	v_cmp_ngt_f32_e64 s[28:29], s58, v8
	v_cndmask_b32_e32 v8, v6, v25, vcc
	v_cndmask_b32_e64 v10, v6, v10, s[0:1]
	v_cndmask_b32_e64 v18, v6, v18, s[2:3]
	;; [unrolled: 1-line block ×15, first 2 shown]
	v_cvt_i32_f32_e32 v8, v8
	v_cvt_i32_f32_sdwa v10, v10 dst_sel:BYTE_1 dst_unused:UNUSED_PAD src0_sel:DWORD
	v_cvt_i32_f32_e32 v18, v18
	v_cvt_i32_f32_sdwa v11, v11 dst_sel:BYTE_1 dst_unused:UNUSED_PAD src0_sel:DWORD
	;; [unrolled: 2-line block ×8, first 2 shown]
	v_or_b32_sdwa v16, v23, v16 dst_sel:DWORD dst_unused:UNUSED_PAD src0_sel:BYTE_0 src1_sel:DWORD
	v_or_b32_sdwa v17, v24, v17 dst_sel:WORD_1 dst_unused:UNUSED_PAD src0_sel:BYTE_0 src1_sel:DWORD
	v_or_b32_sdwa v14, v21, v14 dst_sel:DWORD dst_unused:UNUSED_PAD src0_sel:BYTE_0 src1_sel:DWORD
	v_or_b32_sdwa v15, v22, v15 dst_sel:WORD_1 dst_unused:UNUSED_PAD src0_sel:BYTE_0 src1_sel:DWORD
	v_or_b32_sdwa v19, v19, v12 dst_sel:DWORD dst_unused:UNUSED_PAD src0_sel:BYTE_0 src1_sel:DWORD
	v_or_b32_sdwa v20, v20, v13 dst_sel:WORD_1 dst_unused:UNUSED_PAD src0_sel:BYTE_0 src1_sel:DWORD
	v_or_b32_sdwa v8, v8, v10 dst_sel:DWORD dst_unused:UNUSED_PAD src0_sel:BYTE_0 src1_sel:DWORD
	v_or_b32_sdwa v10, v18, v11 dst_sel:WORD_1 dst_unused:UNUSED_PAD src0_sel:BYTE_0 src1_sel:DWORD
	v_or_b32_sdwa v13, v16, v17 dst_sel:DWORD dst_unused:UNUSED_PAD src0_sel:WORD_0 src1_sel:DWORD
	v_or_b32_sdwa v12, v14, v15 dst_sel:DWORD dst_unused:UNUSED_PAD src0_sel:WORD_0 src1_sel:DWORD
	;; [unrolled: 1-line block ×4, first 2 shown]
	global_store_dwordx4 v[1:2], v[10:13], off offset:-7
	v_add_co_u32_e32 v1, vcc, s55, v1
	v_addc_co_u32_e32 v2, vcc, 0, v2, vcc
	s_andn2_b64 exec, exec, s[48:49]
	s_cbranch_execnz .LBB10_37
.LBB10_38:
	s_or_b64 exec, exec, s[46:47]
	v_lshl_add_u32 v1, s54, 4, v0
	v_cmp_gt_i32_e32 vcc, s53, v1
	s_and_saveexec_b64 s[2:3], vcc
	s_cbranch_execz .LBB10_46
; %bb.39:
	s_add_u32 s6, s44, s42
	v_add_u32_e32 v2, 1, v1
	s_addc_u32 s7, s45, s43
	v_max_i32_e32 v2, s53, v2
	s_and_b32 s0, s33, 0xffff
	v_sub_u32_e32 v4, v2, v1
	s_cmp_eq_u32 s0, 1
	v_cmp_lt_u32_e32 vcc, 1, v4
	s_cselect_b64 s[0:1], -1, 0
	s_and_b64 s[8:9], vcc, s[0:1]
	s_mov_b64 s[4:5], -1
	s_and_saveexec_b64 s[0:1], s[8:9]
	s_cbranch_execz .LBB10_43
; %bb.40:
	s_lshl_b64 s[4:5], s[42:43], 1
	s_add_u32 s8, s51, s4
	s_addc_u32 s9, s52, s5
	v_and_b32_e32 v5, -2, v4
	s_mov_b64 s[4:5], 0
	v_mov_b32_e32 v6, s7
	v_mov_b32_e32 v7, s9
	s_mov_b32 s9, 0x42fe0000
	v_mov_b32_e32 v8, 0x42fe0000
	s_mov_b32 s10, 0xc3000000
	v_mov_b32_e32 v10, 0xc3000000
	v_mov_b32_e32 v2, v1
	;; [unrolled: 1-line block ×3, first 2 shown]
.LBB10_41:                              ; =>This Inner Loop Header: Depth=1
	v_ashrrev_i32_e32 v3, 31, v2
	v_lshlrev_b64 v[12:13], 1, v[2:3]
	v_add_u32_e32 v11, -2, v11
	v_add_co_u32_e32 v12, vcc, s8, v12
	v_addc_co_u32_e32 v13, vcc, v7, v13, vcc
	global_load_dword v12, v[12:13], off
	s_waitcnt vmcnt(0)
	v_lshlrev_b32_e32 v13, 16, v12
	v_and_b32_e32 v12, 0xffff0000, v12
	v_mul_f32_e32 v12, v9, v12
	v_mul_f32_e32 v13, v9, v13
	v_rndne_f32_e32 v12, v12
	v_rndne_f32_e32 v13, v13
	v_cmp_nlt_f32_e32 vcc, s9, v12
	v_cndmask_b32_e32 v14, v8, v12, vcc
	v_cmp_nlt_f32_e32 vcc, s9, v13
	v_cndmask_b32_e32 v15, v8, v13, vcc
	v_cmp_ngt_f32_e32 vcc, s10, v13
	v_cndmask_b32_e32 v13, v10, v15, vcc
	v_cmp_ngt_f32_e32 vcc, s10, v12
	v_cndmask_b32_e32 v12, v10, v14, vcc
	v_cvt_i32_f32_sdwa v14, v12 dst_sel:BYTE_1 dst_unused:UNUSED_PAD src0_sel:DWORD
	v_cvt_i32_f32_e32 v15, v13
	v_add_co_u32_e32 v12, vcc, s6, v2
	v_addc_co_u32_e32 v13, vcc, v6, v3, vcc
	v_cmp_eq_u32_e32 vcc, 0, v11
	s_or_b64 s[4:5], vcc, s[4:5]
	v_or_b32_sdwa v3, v15, v14 dst_sel:DWORD dst_unused:UNUSED_PAD src0_sel:BYTE_0 src1_sel:DWORD
	v_add_u32_e32 v2, 2, v2
	global_store_short v[12:13], v3, off
	s_andn2_b64 exec, exec, s[4:5]
	s_cbranch_execnz .LBB10_41
; %bb.42:
	s_or_b64 exec, exec, s[4:5]
	v_cmp_ne_u32_e32 vcc, v4, v5
	v_add_u32_e32 v1, v1, v5
	s_orn2_b64 s[4:5], vcc, exec
.LBB10_43:
	s_or_b64 exec, exec, s[0:1]
	s_and_b64 exec, exec, s[4:5]
	s_cbranch_execz .LBB10_46
; %bb.44:
	s_lshl_b64 s[0:1], s[42:43], 1
	s_add_u32 s0, s36, s0
	v_ashrrev_i32_e32 v2, 31, v1
	s_addc_u32 s1, s37, s1
	v_lshlrev_b64 v[3:4], 1, v[1:2]
	s_add_u32 s0, s34, s0
	s_addc_u32 s1, s35, s1
	v_mov_b32_e32 v5, s1
	v_add_co_u32_e32 v3, vcc, s0, v3
	v_addc_co_u32_e32 v4, vcc, v5, v4, vcc
	s_lshl_b32 s8, s33, 1
	s_mov_b64 s[4:5], 0
	v_mov_b32_e32 v5, s7
	s_mov_b32 s7, 0x42fe0000
	v_mov_b32_e32 v6, 0x42fe0000
	s_mov_b32 s9, 0xc3000000
	v_mov_b32_e32 v7, 0xc3000000
.LBB10_45:                              ; =>This Inner Loop Header: Depth=1
	global_load_ushort v8, v[3:4], off
	v_add_co_u32_e32 v10, vcc, s6, v1
	v_addc_co_u32_e32 v11, vcc, v5, v2, vcc
	v_add_co_u32_e32 v1, vcc, s33, v1
	v_addc_co_u32_e32 v2, vcc, 0, v2, vcc
	;; [unrolled: 2-line block ×3, first 2 shown]
	v_cmp_le_i32_e32 vcc, s53, v1
	s_or_b64 s[4:5], vcc, s[4:5]
	s_waitcnt vmcnt(0)
	v_lshlrev_b32_e32 v8, 16, v8
	v_mul_f32_e32 v8, v9, v8
	v_rndne_f32_e32 v8, v8
	v_cmp_nlt_f32_e64 s[0:1], s7, v8
	v_cndmask_b32_e64 v12, v6, v8, s[0:1]
	v_cmp_ngt_f32_e64 s[0:1], s9, v8
	v_cndmask_b32_e64 v8, v7, v12, s[0:1]
	v_cvt_i32_f32_e32 v8, v8
	global_store_byte v[10:11], v8, off
	s_andn2_b64 exec, exec, s[4:5]
	s_cbranch_execnz .LBB10_45
.LBB10_46:
	s_or_b64 exec, exec, s[2:3]
	s_mov_b64 s[2:3], 0
.LBB10_47:
	s_and_b64 vcc, exec, s[2:3]
	s_cbranch_vccz .LBB10_51
; %bb.48:
	s_ashr_i32 s42, s50, 4
	v_cmp_gt_i32_e32 vcc, s42, v0
	s_and_saveexec_b64 s[0:1], vcc
	s_cbranch_execz .LBB10_51
; %bb.49:
	s_add_u32 s0, s40, s38
	v_lshlrev_b32_e32 v1, 4, v0
	s_addc_u32 s1, s41, s39
	v_mov_b32_e32 v2, s1
	v_add_co_u32_e32 v1, vcc, s0, v1
	v_addc_co_u32_e32 v2, vcc, 0, v2, vcc
	s_lshl_b32 s38, s33, 4
	v_add_co_u32_e32 v5, vcc, 7, v1
	s_add_u32 s0, s34, s36
	v_addc_co_u32_e32 v6, vcc, 0, v2, vcc
	v_lshlrev_b32_e32 v1, 5, v0
	s_addc_u32 s1, s35, s37
	v_mov_b32_e32 v2, s1
	v_add_co_u32_e32 v7, vcc, s0, v1
	v_addc_co_u32_e32 v8, vcc, 0, v2, vcc
	s_lshl_b32 s36, s33, 5
	s_mov_b64 s[34:35], 0
	s_mov_b32 s37, 0x42fe0000
	v_mov_b32_e32 v10, 0x42fe0000
	s_mov_b32 s39, 0xc3000000
	v_mov_b32_e32 v11, 0xc3000000
.LBB10_50:                              ; =>This Inner Loop Header: Depth=1
	global_load_dwordx4 v[12:15], v[7:8], off
	global_load_dwordx4 v[1:4], v[7:8], off offset:16
	v_add_co_u32_e64 v7, s[30:31], s36, v7
	v_add_u32_e32 v0, s33, v0
	v_addc_co_u32_e64 v8, s[30:31], 0, v8, s[30:31]
	v_cmp_le_i32_e64 s[30:31], s42, v0
	s_or_b64 s[34:35], s[30:31], s[34:35]
	s_waitcnt vmcnt(1)
	v_lshlrev_b32_e32 v16, 16, v12
	s_waitcnt vmcnt(0)
	v_lshlrev_b32_e32 v24, 16, v1
	v_and_b32_e32 v25, 0xffff0000, v1
	v_mul_f32_e32 v1, v9, v16
	v_lshlrev_b32_e32 v26, 16, v2
	v_and_b32_e32 v27, 0xffff0000, v2
	v_rndne_f32_e32 v2, v1
	v_and_b32_e32 v12, 0xffff0000, v12
	v_cmp_nlt_f32_e32 vcc, s37, v2
	v_cndmask_b32_e32 v1, v10, v2, vcc
	v_cmp_ngt_f32_e32 vcc, s39, v2
	v_mul_f32_e32 v2, v9, v12
	v_lshlrev_b32_e32 v18, 16, v3
	v_and_b32_e32 v21, 0xffff0000, v3
	v_rndne_f32_e32 v3, v2
	v_lshlrev_b32_e32 v17, 16, v13
	v_cmp_nlt_f32_e64 s[0:1], s37, v3
	v_cndmask_b32_e64 v2, v10, v3, s[0:1]
	v_cmp_ngt_f32_e64 s[0:1], s39, v3
	v_mul_f32_e32 v3, v9, v17
	v_lshlrev_b32_e32 v22, 16, v4
	v_and_b32_e32 v23, 0xffff0000, v4
	v_rndne_f32_e32 v4, v3
	v_and_b32_e32 v13, 0xffff0000, v13
	v_cmp_nlt_f32_e64 s[2:3], s37, v4
	v_cndmask_b32_e64 v3, v10, v4, s[2:3]
	v_cmp_ngt_f32_e64 s[2:3], s39, v4
	v_mul_f32_e32 v4, v9, v13
	v_rndne_f32_e32 v12, v4
	v_lshlrev_b32_e32 v19, 16, v14
	v_cmp_nlt_f32_e64 s[4:5], s37, v12
	v_cndmask_b32_e64 v4, v10, v12, s[4:5]
	v_cmp_ngt_f32_e64 s[4:5], s39, v12
	v_mul_f32_e32 v12, v9, v19
	v_rndne_f32_e32 v13, v12
	v_and_b32_e32 v14, 0xffff0000, v14
	v_cmp_nlt_f32_e64 s[6:7], s37, v13
	v_cndmask_b32_e64 v12, v10, v13, s[6:7]
	v_cmp_ngt_f32_e64 s[6:7], s39, v13
	v_mul_f32_e32 v13, v9, v14
	v_rndne_f32_e32 v14, v13
	v_lshlrev_b32_e32 v20, 16, v15
	v_cmp_nlt_f32_e64 s[8:9], s37, v14
	v_cndmask_b32_e64 v13, v10, v14, s[8:9]
	v_cmp_ngt_f32_e64 s[8:9], s39, v14
	v_mul_f32_e32 v14, v9, v20
	v_and_b32_e32 v15, 0xffff0000, v15
	v_rndne_f32_e32 v16, v14
	v_cmp_nlt_f32_e64 s[10:11], s37, v16
	v_mul_f32_e32 v15, v9, v15
	v_cndmask_b32_e64 v14, v10, v16, s[10:11]
	v_cmp_ngt_f32_e64 s[10:11], s39, v16
	v_rndne_f32_e32 v16, v15
	v_cmp_nlt_f32_e64 s[12:13], s37, v16
	v_cndmask_b32_e64 v15, v10, v16, s[12:13]
	v_cmp_ngt_f32_e64 s[12:13], s39, v16
	v_mul_f32_e32 v16, v9, v24
	v_rndne_f32_e32 v17, v16
	v_cmp_nlt_f32_e64 s[14:15], s37, v17
	v_cndmask_b32_e64 v16, v10, v17, s[14:15]
	v_cmp_ngt_f32_e64 s[14:15], s39, v17
	v_mul_f32_e32 v17, v9, v25
	;; [unrolled: 5-line block ×4, first 2 shown]
	v_mul_f32_e32 v21, v9, v21
	v_rndne_f32_e32 v24, v20
	v_rndne_f32_e32 v21, v21
	v_cmp_nlt_f32_e64 s[20:21], s37, v24
	v_cmp_nlt_f32_e64 s[22:23], s37, v21
	v_cndmask_b32_e64 v20, v10, v24, s[20:21]
	v_cmp_ngt_f32_e64 s[20:21], s39, v24
	v_cndmask_b32_e64 v24, v10, v21, s[22:23]
	v_cmp_ngt_f32_e64 s[22:23], s39, v21
	v_mul_f32_e32 v21, v9, v22
	v_rndne_f32_e32 v21, v21
	v_cmp_nlt_f32_e64 s[24:25], s37, v21
	v_cndmask_b32_e64 v22, v10, v21, s[24:25]
	v_cmp_ngt_f32_e64 s[24:25], s39, v21
	v_mul_f32_e32 v21, v9, v23
	v_mul_f32_e32 v18, v9, v18
	v_rndne_f32_e32 v21, v21
	v_rndne_f32_e32 v18, v18
	v_cmp_nlt_f32_e64 s[26:27], s37, v21
	v_cmp_nlt_f32_e64 s[28:29], s37, v18
	v_cndmask_b32_e64 v23, v10, v21, s[26:27]
	v_cmp_ngt_f32_e64 s[26:27], s39, v21
	v_cndmask_b32_e64 v21, v10, v18, s[28:29]
	v_cmp_ngt_f32_e64 s[28:29], s39, v18
	v_cndmask_b32_e64 v18, v11, v21, s[28:29]
	v_cndmask_b32_e64 v21, v11, v24, s[22:23]
	v_cndmask_b32_e64 v22, v11, v22, s[24:25]
	v_cndmask_b32_e64 v23, v11, v23, s[26:27]
	v_cndmask_b32_e64 v16, v11, v16, s[14:15]
	v_cndmask_b32_e64 v17, v11, v17, s[16:17]
	v_cndmask_b32_e64 v19, v11, v19, s[18:19]
	v_cndmask_b32_e64 v20, v11, v20, s[20:21]
	v_cndmask_b32_e32 v1, v11, v1, vcc
	v_cndmask_b32_e64 v2, v11, v2, s[0:1]
	v_cndmask_b32_e64 v3, v11, v3, s[2:3]
	v_cndmask_b32_e64 v4, v11, v4, s[4:5]
	v_cndmask_b32_e64 v12, v11, v12, s[6:7]
	v_cndmask_b32_e64 v13, v11, v13, s[8:9]
	v_cndmask_b32_e64 v14, v11, v14, s[10:11]
	v_cndmask_b32_e64 v15, v11, v15, s[12:13]
	v_cvt_i32_f32_e32 v18, v18
	v_cvt_i32_f32_sdwa v21, v21 dst_sel:BYTE_1 dst_unused:UNUSED_PAD src0_sel:DWORD
	v_cvt_i32_f32_e32 v22, v22
	v_cvt_i32_f32_sdwa v23, v23 dst_sel:BYTE_1 dst_unused:UNUSED_PAD src0_sel:DWORD
	;; [unrolled: 2-line block ×8, first 2 shown]
	v_or_b32_sdwa v18, v18, v21 dst_sel:DWORD dst_unused:UNUSED_PAD src0_sel:BYTE_0 src1_sel:DWORD
	v_or_b32_sdwa v21, v22, v23 dst_sel:WORD_1 dst_unused:UNUSED_PAD src0_sel:BYTE_0 src1_sel:DWORD
	v_or_b32_sdwa v16, v16, v17 dst_sel:DWORD dst_unused:UNUSED_PAD src0_sel:BYTE_0 src1_sel:DWORD
	v_or_b32_sdwa v17, v19, v20 dst_sel:WORD_1 dst_unused:UNUSED_PAD src0_sel:BYTE_0 src1_sel:DWORD
	;; [unrolled: 2-line block ×4, first 2 shown]
	v_or_b32_sdwa v4, v18, v21 dst_sel:DWORD dst_unused:UNUSED_PAD src0_sel:WORD_0 src1_sel:DWORD
	v_or_b32_sdwa v3, v16, v17 dst_sel:DWORD dst_unused:UNUSED_PAD src0_sel:WORD_0 src1_sel:DWORD
	;; [unrolled: 1-line block ×4, first 2 shown]
	global_store_dwordx4 v[5:6], v[1:4], off offset:-7
	v_add_co_u32_e32 v5, vcc, s38, v5
	v_addc_co_u32_e32 v6, vcc, 0, v6, vcc
	s_andn2_b64 exec, exec, s[34:35]
	s_cbranch_execnz .LBB10_50
.LBB10_51:
	s_endpgm
	.section	.rodata,"a",@progbits
	.p2align	6, 0x0
	.amdhsa_kernel _ZN4vllm32dynamic_scaled_int8_quant_kernelIN3c108BFloat16EfEEvPKT_PaPT0_i
		.amdhsa_group_segment_fixed_size 20
		.amdhsa_private_segment_fixed_size 0
		.amdhsa_kernarg_size 288
		.amdhsa_user_sgpr_count 6
		.amdhsa_user_sgpr_private_segment_buffer 1
		.amdhsa_user_sgpr_dispatch_ptr 0
		.amdhsa_user_sgpr_queue_ptr 0
		.amdhsa_user_sgpr_kernarg_segment_ptr 1
		.amdhsa_user_sgpr_dispatch_id 0
		.amdhsa_user_sgpr_flat_scratch_init 0
		.amdhsa_user_sgpr_private_segment_size 0
		.amdhsa_uses_dynamic_stack 0
		.amdhsa_system_sgpr_private_segment_wavefront_offset 0
		.amdhsa_system_sgpr_workgroup_id_x 1
		.amdhsa_system_sgpr_workgroup_id_y 0
		.amdhsa_system_sgpr_workgroup_id_z 0
		.amdhsa_system_sgpr_workgroup_info 0
		.amdhsa_system_vgpr_workitem_id 0
		.amdhsa_next_free_vgpr 28
		.amdhsa_next_free_sgpr 59
		.amdhsa_reserve_vcc 1
		.amdhsa_reserve_flat_scratch 0
		.amdhsa_float_round_mode_32 0
		.amdhsa_float_round_mode_16_64 0
		.amdhsa_float_denorm_mode_32 3
		.amdhsa_float_denorm_mode_16_64 3
		.amdhsa_dx10_clamp 1
		.amdhsa_ieee_mode 1
		.amdhsa_fp16_overflow 0
		.amdhsa_exception_fp_ieee_invalid_op 0
		.amdhsa_exception_fp_denorm_src 0
		.amdhsa_exception_fp_ieee_div_zero 0
		.amdhsa_exception_fp_ieee_overflow 0
		.amdhsa_exception_fp_ieee_underflow 0
		.amdhsa_exception_fp_ieee_inexact 0
		.amdhsa_exception_int_div_zero 0
	.end_amdhsa_kernel
	.section	.text._ZN4vllm32dynamic_scaled_int8_quant_kernelIN3c108BFloat16EfEEvPKT_PaPT0_i,"axG",@progbits,_ZN4vllm32dynamic_scaled_int8_quant_kernelIN3c108BFloat16EfEEvPKT_PaPT0_i,comdat
.Lfunc_end10:
	.size	_ZN4vllm32dynamic_scaled_int8_quant_kernelIN3c108BFloat16EfEEvPKT_PaPT0_i, .Lfunc_end10-_ZN4vllm32dynamic_scaled_int8_quant_kernelIN3c108BFloat16EfEEvPKT_PaPT0_i
                                        ; -- End function
	.set _ZN4vllm32dynamic_scaled_int8_quant_kernelIN3c108BFloat16EfEEvPKT_PaPT0_i.num_vgpr, 28
	.set _ZN4vllm32dynamic_scaled_int8_quant_kernelIN3c108BFloat16EfEEvPKT_PaPT0_i.num_agpr, 0
	.set _ZN4vllm32dynamic_scaled_int8_quant_kernelIN3c108BFloat16EfEEvPKT_PaPT0_i.numbered_sgpr, 59
	.set _ZN4vllm32dynamic_scaled_int8_quant_kernelIN3c108BFloat16EfEEvPKT_PaPT0_i.num_named_barrier, 0
	.set _ZN4vllm32dynamic_scaled_int8_quant_kernelIN3c108BFloat16EfEEvPKT_PaPT0_i.private_seg_size, 0
	.set _ZN4vllm32dynamic_scaled_int8_quant_kernelIN3c108BFloat16EfEEvPKT_PaPT0_i.uses_vcc, 1
	.set _ZN4vllm32dynamic_scaled_int8_quant_kernelIN3c108BFloat16EfEEvPKT_PaPT0_i.uses_flat_scratch, 0
	.set _ZN4vllm32dynamic_scaled_int8_quant_kernelIN3c108BFloat16EfEEvPKT_PaPT0_i.has_dyn_sized_stack, 0
	.set _ZN4vllm32dynamic_scaled_int8_quant_kernelIN3c108BFloat16EfEEvPKT_PaPT0_i.has_recursion, 0
	.set _ZN4vllm32dynamic_scaled_int8_quant_kernelIN3c108BFloat16EfEEvPKT_PaPT0_i.has_indirect_call, 0
	.section	.AMDGPU.csdata,"",@progbits
; Kernel info:
; codeLenInByte = 5168
; TotalNumSgprs: 63
; NumVgprs: 28
; ScratchSize: 0
; MemoryBound: 0
; FloatMode: 240
; IeeeMode: 1
; LDSByteSize: 20 bytes/workgroup (compile time only)
; SGPRBlocks: 7
; VGPRBlocks: 6
; NumSGPRsForWavesPerEU: 63
; NumVGPRsForWavesPerEU: 28
; Occupancy: 9
; WaveLimiterHint : 0
; COMPUTE_PGM_RSRC2:SCRATCH_EN: 0
; COMPUTE_PGM_RSRC2:USER_SGPR: 6
; COMPUTE_PGM_RSRC2:TRAP_HANDLER: 0
; COMPUTE_PGM_RSRC2:TGID_X_EN: 1
; COMPUTE_PGM_RSRC2:TGID_Y_EN: 0
; COMPUTE_PGM_RSRC2:TGID_Z_EN: 0
; COMPUTE_PGM_RSRC2:TIDIG_COMP_CNT: 0
	.section	.text._ZN4vllm36dynamic_scaled_int8_azp_quant_kernelIN3c108BFloat16EfiEEvPKT_PaPT0_PT1_i,"axG",@progbits,_ZN4vllm36dynamic_scaled_int8_azp_quant_kernelIN3c108BFloat16EfiEEvPKT_PaPT0_PT1_i,comdat
	.protected	_ZN4vllm36dynamic_scaled_int8_azp_quant_kernelIN3c108BFloat16EfiEEvPKT_PaPT0_PT1_i ; -- Begin function _ZN4vllm36dynamic_scaled_int8_azp_quant_kernelIN3c108BFloat16EfiEEvPKT_PaPT0_PT1_i
	.globl	_ZN4vllm36dynamic_scaled_int8_azp_quant_kernelIN3c108BFloat16EfiEEvPKT_PaPT0_PT1_i
	.p2align	8
	.type	_ZN4vllm36dynamic_scaled_int8_azp_quant_kernelIN3c108BFloat16EfiEEvPKT_PaPT0_PT1_i,@function
_ZN4vllm36dynamic_scaled_int8_azp_quant_kernelIN3c108BFloat16EfiEEvPKT_PaPT0_PT1_i: ; @_ZN4vllm36dynamic_scaled_int8_azp_quant_kernelIN3c108BFloat16EfiEEvPKT_PaPT0_PT1_i
; %bb.0:
	s_load_dword s86, s[4:5], 0x20
	s_load_dword s0, s[4:5], 0x34
	s_load_dwordx2 s[64:65], s[4:5], 0x0
	s_mov_b32 s7, 0
	s_waitcnt lgkmcnt(0)
	s_ashr_i32 s1, s86, 31
	s_and_b32 s33, s0, 0xffff
	s_mul_hi_u32 s0, s86, s6
	s_mul_i32 s1, s1, s6
	s_add_i32 s69, s0, s1
	s_mul_i32 s68, s86, s6
	s_lshl_b64 s[66:67], s[68:69], 1
	s_add_u32 s84, s64, s66
	s_addc_u32 s85, s65, s67
	s_and_b32 s0, s84, 31
	s_mov_b32 s1, s7
	s_cmp_lg_u64 s[0:1], 0
	s_cselect_b64 s[0:1], -1, 0
	s_and_b32 s2, s86, 15
	s_cmp_lg_u32 s2, 0
	s_cselect_b64 s[2:3], -1, 0
	s_or_b64 s[0:1], s[2:3], s[0:1]
	s_and_b64 vcc, exec, s[0:1]
	s_cbranch_vccz .LBB11_14
; %bb.1:
	s_sub_i32 s2, 0, s84
	s_bfe_u32 s2, s2, 0x40001
	s_min_i32 s2, s2, s86
	v_cmp_gt_i32_e32 vcc, s2, v0
	v_mov_b32_e32 v2, 0xff7fffff
	v_mov_b32_e32 v1, 0x7f7fffff
	s_and_saveexec_b64 s[8:9], vcc
	s_cbranch_execz .LBB11_5
; %bb.2:
	s_add_u32 s3, s64, s66
	v_lshlrev_b32_e32 v1, 1, v0
	s_addc_u32 s10, s65, s67
	v_mov_b32_e32 v2, s10
	v_add_co_u32_e32 v3, vcc, s3, v1
	v_addc_co_u32_e32 v4, vcc, 0, v2, vcc
	s_lshl_b32 s3, s33, 1
	v_mov_b32_e32 v1, 0x7f7fffff
	v_mov_b32_e32 v2, 0xff7fffff
	s_mov_b64 s[10:11], 0
	v_mov_b32_e32 v5, v0
.LBB11_3:                               ; =>This Inner Loop Header: Depth=1
	global_load_ushort v6, v[3:4], off
	v_add_co_u32_e32 v3, vcc, s3, v3
	v_add_u32_e32 v5, s33, v5
	v_addc_co_u32_e32 v4, vcc, 0, v4, vcc
	v_max_f32_e32 v1, v1, v1
	v_max_f32_e32 v2, v2, v2
	v_cmp_le_i32_e32 vcc, s2, v5
	s_or_b64 s[10:11], vcc, s[10:11]
	s_waitcnt vmcnt(0)
	v_lshlrev_b32_e32 v6, 16, v6
	v_max_f32_e32 v6, v6, v6
	v_min_f32_e32 v1, v1, v6
	v_max_f32_e32 v2, v2, v6
	s_andn2_b64 exec, exec, s[10:11]
	s_cbranch_execnz .LBB11_3
; %bb.4:
	s_or_b64 exec, exec, s[10:11]
.LBB11_5:
	s_or_b64 exec, exec, s[8:9]
	s_sub_i32 s12, s86, s2
	s_ashr_i32 s8, s12, 31
	s_lshr_b32 s8, s8, 28
	s_add_i32 s8, s12, s8
	s_ashr_i32 s13, s8, 4
	s_ashr_i32 s3, s2, 31
	v_cmp_gt_i32_e32 vcc, s13, v0
	s_and_saveexec_b64 s[8:9], vcc
	s_cbranch_execz .LBB11_9
; %bb.6:
	s_lshl_b64 s[10:11], s[2:3], 1
	s_add_u32 s10, s64, s10
	s_addc_u32 s11, s65, s11
	s_add_u32 s10, s10, s66
	v_lshlrev_b32_e32 v3, 5, v0
	s_addc_u32 s11, s11, s67
	v_mov_b32_e32 v4, s11
	v_add_co_u32_e32 v3, vcc, s10, v3
	v_addc_co_u32_e32 v4, vcc, 0, v4, vcc
	s_lshl_b32 s14, s33, 5
	s_mov_b64 s[10:11], 0
	v_mov_b32_e32 v5, v0
.LBB11_7:                               ; =>This Inner Loop Header: Depth=1
	global_load_dwordx4 v[6:9], v[3:4], off
	global_load_dwordx4 v[10:13], v[3:4], off offset:16
	v_add_co_u32_e32 v3, vcc, s14, v3
	v_add_u32_e32 v5, s33, v5
	v_addc_co_u32_e32 v4, vcc, 0, v4, vcc
	v_cmp_le_i32_e32 vcc, s13, v5
	s_or_b64 s[10:11], vcc, s[10:11]
	s_waitcnt vmcnt(1)
	v_lshlrev_b32_e32 v14, 16, v6
	v_and_b32_e32 v6, 0xffff0000, v6
	v_lshlrev_b32_e32 v15, 16, v7
	v_and_b32_e32 v7, 0xffff0000, v7
	v_min3_f32 v1, v1, v14, v6
	v_max3_f32 v2, v2, v14, v6
	v_lshlrev_b32_e32 v16, 16, v8
	v_and_b32_e32 v8, 0xffff0000, v8
	v_min3_f32 v1, v1, v15, v7
	v_max3_f32 v2, v2, v15, v7
	;; [unrolled: 4-line block ×3, first 2 shown]
	s_waitcnt vmcnt(0)
	v_lshlrev_b32_e32 v18, 16, v10
	v_and_b32_e32 v10, 0xffff0000, v10
	v_min3_f32 v1, v1, v17, v9
	v_max3_f32 v2, v2, v17, v9
	v_lshlrev_b32_e32 v19, 16, v11
	v_and_b32_e32 v11, 0xffff0000, v11
	v_min3_f32 v1, v1, v18, v10
	v_max3_f32 v2, v2, v18, v10
	;; [unrolled: 4-line block ×4, first 2 shown]
	v_min3_f32 v1, v1, v21, v13
	v_max3_f32 v2, v2, v21, v13
	s_andn2_b64 exec, exec, s[10:11]
	s_cbranch_execnz .LBB11_7
; %bb.8:
	s_or_b64 exec, exec, s[10:11]
.LBB11_9:
	s_or_b64 exec, exec, s[8:9]
	v_lshl_add_u32 v3, s13, 4, v0
	v_cmp_gt_i32_e32 vcc, s12, v3
	s_and_saveexec_b64 s[8:9], vcc
	s_cbranch_execz .LBB11_13
; %bb.10:
	s_lshl_b64 s[2:3], s[2:3], 1
	s_add_u32 s2, s66, s2
	s_addc_u32 s3, s67, s3
	v_ashrrev_i32_e32 v4, 31, v3
	v_lshlrev_b64 v[4:5], 1, v[3:4]
	s_add_u32 s2, s64, s2
	s_addc_u32 s3, s65, s3
	v_mov_b32_e32 v6, s3
	v_add_co_u32_e32 v4, vcc, s2, v4
	v_addc_co_u32_e32 v5, vcc, v6, v5, vcc
	s_lshl_b32 s10, s33, 1
	s_mov_b64 s[2:3], 0
.LBB11_11:                              ; =>This Inner Loop Header: Depth=1
	global_load_ushort v6, v[4:5], off
	v_add_co_u32_e32 v4, vcc, s10, v4
	v_add_u32_e32 v3, s33, v3
	v_addc_co_u32_e32 v5, vcc, 0, v5, vcc
	v_max_f32_e32 v1, v1, v1
	v_max_f32_e32 v2, v2, v2
	v_cmp_le_i32_e32 vcc, s12, v3
	s_or_b64 s[2:3], vcc, s[2:3]
	s_waitcnt vmcnt(0)
	v_lshlrev_b32_e32 v6, 16, v6
	v_max_f32_e32 v6, v6, v6
	v_min_f32_e32 v1, v1, v6
	v_max_f32_e32 v2, v2, v6
	s_andn2_b64 exec, exec, s[2:3]
	s_cbranch_execnz .LBB11_11
; %bb.12:
	s_or_b64 exec, exec, s[2:3]
.LBB11_13:
	s_or_b64 exec, exec, s[8:9]
	s_branch .LBB11_20
.LBB11_14:
                                        ; implicit-def: $vgpr1
	s_cbranch_execz .LBB11_20
; %bb.15:
	s_ashr_i32 s10, s86, 4
	v_cmp_gt_i32_e32 vcc, s10, v0
	v_mov_b32_e32 v2, 0xff7fffff
	v_mov_b32_e32 v1, 0x7f7fffff
	s_and_saveexec_b64 s[2:3], vcc
	s_cbranch_execz .LBB11_19
; %bb.16:
	s_add_u32 s8, s64, s66
	v_lshlrev_b32_e32 v1, 5, v0
	s_addc_u32 s9, s65, s67
	v_mov_b32_e32 v2, s9
	v_add_co_u32_e32 v3, vcc, s8, v1
	v_addc_co_u32_e32 v4, vcc, 0, v2, vcc
	s_lshl_b32 s11, s33, 5
	v_mov_b32_e32 v1, 0x7f7fffff
	v_mov_b32_e32 v2, 0xff7fffff
	s_mov_b64 s[8:9], 0
	v_mov_b32_e32 v5, v0
.LBB11_17:                              ; =>This Inner Loop Header: Depth=1
	global_load_dwordx4 v[6:9], v[3:4], off
	global_load_dwordx4 v[10:13], v[3:4], off offset:16
	v_add_co_u32_e32 v3, vcc, s11, v3
	v_add_u32_e32 v5, s33, v5
	v_addc_co_u32_e32 v4, vcc, 0, v4, vcc
	v_cmp_le_i32_e32 vcc, s10, v5
	s_or_b64 s[8:9], vcc, s[8:9]
	s_waitcnt vmcnt(1)
	v_lshlrev_b32_e32 v14, 16, v6
	v_and_b32_e32 v6, 0xffff0000, v6
	v_lshlrev_b32_e32 v15, 16, v7
	v_and_b32_e32 v7, 0xffff0000, v7
	v_min3_f32 v1, v1, v14, v6
	v_max3_f32 v2, v2, v14, v6
	v_lshlrev_b32_e32 v16, 16, v8
	v_and_b32_e32 v8, 0xffff0000, v8
	v_min3_f32 v1, v1, v15, v7
	v_max3_f32 v2, v2, v15, v7
	;; [unrolled: 4-line block ×3, first 2 shown]
	s_waitcnt vmcnt(0)
	v_lshlrev_b32_e32 v18, 16, v10
	v_and_b32_e32 v10, 0xffff0000, v10
	v_min3_f32 v1, v1, v17, v9
	v_max3_f32 v2, v2, v17, v9
	v_lshlrev_b32_e32 v19, 16, v11
	v_and_b32_e32 v11, 0xffff0000, v11
	v_min3_f32 v1, v1, v18, v10
	v_max3_f32 v2, v2, v18, v10
	;; [unrolled: 4-line block ×4, first 2 shown]
	v_min3_f32 v1, v1, v21, v13
	v_max3_f32 v2, v2, v21, v13
	s_andn2_b64 exec, exec, s[8:9]
	s_cbranch_execnz .LBB11_17
; %bb.18:
	s_or_b64 exec, exec, s[8:9]
.LBB11_19:
	s_or_b64 exec, exec, s[2:3]
.LBB11_20:
	v_mbcnt_lo_u32_b32 v3, -1, 0
	v_mbcnt_hi_u32_b32 v3, -1, v3
	v_and_b32_e32 v5, 63, v3
	v_cmp_ne_u32_e32 vcc, 63, v5
	v_addc_co_u32_e32 v4, vcc, 0, v3, vcc
	v_lshlrev_b32_e32 v4, 2, v4
	ds_bpermute_b32 v7, v4, v1
	ds_bpermute_b32 v6, v4, v2
	v_and_b32_e32 v4, 0x3c0, v0
	v_sub_u32_e64 v4, s33, v4 clamp
	v_add_u32_e32 v8, 1, v3
	v_cmp_lt_u32_e32 vcc, v8, v4
	s_and_saveexec_b64 s[2:3], vcc
	s_cbranch_execz .LBB11_22
; %bb.21:
	s_waitcnt lgkmcnt(1)
	v_max_f32_e32 v7, v7, v7
	v_max_f32_e32 v1, v1, v1
	s_waitcnt lgkmcnt(0)
	v_max_f32_e32 v6, v6, v6
	v_max_f32_e32 v2, v2, v2
	v_min_f32_e32 v1, v1, v7
	v_max_f32_e32 v2, v2, v6
.LBB11_22:
	s_or_b64 exec, exec, s[2:3]
	v_cmp_gt_u32_e32 vcc, 62, v5
	s_waitcnt lgkmcnt(0)
	v_cndmask_b32_e64 v6, 0, 2, vcc
	v_add_lshl_u32 v6, v6, v3, 2
	ds_bpermute_b32 v7, v6, v1
	ds_bpermute_b32 v6, v6, v2
	v_add_u32_e32 v8, 2, v3
	v_cmp_lt_u32_e32 vcc, v8, v4
	s_and_saveexec_b64 s[2:3], vcc
	s_cbranch_execz .LBB11_24
; %bb.23:
	s_waitcnt lgkmcnt(1)
	v_max_f32_e32 v7, v7, v7
	v_max_f32_e32 v1, v1, v1
	s_waitcnt lgkmcnt(0)
	v_max_f32_e32 v6, v6, v6
	v_max_f32_e32 v2, v2, v2
	v_min_f32_e32 v1, v1, v7
	v_max_f32_e32 v2, v2, v6
.LBB11_24:
	s_or_b64 exec, exec, s[2:3]
	v_cmp_gt_u32_e32 vcc, 60, v5
	s_waitcnt lgkmcnt(0)
	v_cndmask_b32_e64 v6, 0, 4, vcc
	v_add_lshl_u32 v6, v6, v3, 2
	ds_bpermute_b32 v7, v6, v1
	ds_bpermute_b32 v6, v6, v2
	;; [unrolled: 21-line block ×3, first 2 shown]
	v_add_u32_e32 v8, 8, v3
	v_cmp_lt_u32_e32 vcc, v8, v4
	s_and_saveexec_b64 s[2:3], vcc
	s_cbranch_execz .LBB11_28
; %bb.27:
	s_waitcnt lgkmcnt(1)
	v_max_f32_e32 v7, v7, v7
	v_max_f32_e32 v1, v1, v1
	s_waitcnt lgkmcnt(0)
	v_max_f32_e32 v6, v6, v6
	v_max_f32_e32 v2, v2, v2
	v_min_f32_e32 v1, v1, v7
	v_max_f32_e32 v2, v2, v6
.LBB11_28:
	s_or_b64 exec, exec, s[2:3]
	v_cmp_gt_u32_e32 vcc, 48, v5
	v_cndmask_b32_e64 v5, 0, 16, vcc
	v_add_lshl_u32 v5, v5, v3, 2
	s_waitcnt lgkmcnt(0)
	ds_bpermute_b32 v6, v5, v1
	ds_bpermute_b32 v5, v5, v2
	v_add_u32_e32 v7, 16, v3
	v_cmp_lt_u32_e32 vcc, v7, v4
	s_and_saveexec_b64 s[2:3], vcc
	s_cbranch_execz .LBB11_30
; %bb.29:
	s_waitcnt lgkmcnt(1)
	v_max_f32_e32 v6, v6, v6
	v_max_f32_e32 v1, v1, v1
	s_waitcnt lgkmcnt(0)
	v_max_f32_e32 v5, v5, v5
	v_max_f32_e32 v2, v2, v2
	v_min_f32_e32 v1, v1, v6
	v_max_f32_e32 v2, v2, v5
.LBB11_30:
	s_or_b64 exec, exec, s[2:3]
	s_waitcnt lgkmcnt(0)
	v_lshlrev_b32_e32 v5, 2, v3
	v_or_b32_e32 v6, 0x80, v5
	ds_bpermute_b32 v7, v6, v1
	ds_bpermute_b32 v6, v6, v2
	v_add_u32_e32 v8, 32, v3
	v_cmp_lt_u32_e32 vcc, v8, v4
	s_and_saveexec_b64 s[2:3], vcc
	s_cbranch_execz .LBB11_32
; %bb.31:
	s_waitcnt lgkmcnt(1)
	v_max_f32_e32 v4, v7, v7
	v_max_f32_e32 v1, v1, v1
	v_min_f32_e32 v1, v1, v4
	s_waitcnt lgkmcnt(0)
	v_max_f32_e32 v4, v6, v6
	v_max_f32_e32 v2, v2, v2
	;; [unrolled: 1-line block ×3, first 2 shown]
.LBB11_32:
	s_or_b64 exec, exec, s[2:3]
	v_cmp_eq_u32_e32 vcc, 0, v3
	s_and_saveexec_b64 s[2:3], vcc
; %bb.33:
	v_lshrrev_b32_e32 v4, 3, v0
	v_and_b32_e32 v4, 0x78, v4
	ds_write_b64 v4, v[1:2]
; %bb.34:
	s_or_b64 exec, exec, s[2:3]
	s_load_dwordx2 s[70:71], s[4:5], 0x8
	v_cmp_gt_u32_e32 vcc, 4, v0
	s_waitcnt lgkmcnt(0)
	s_barrier
	s_and_saveexec_b64 s[2:3], vcc
	s_cbranch_execz .LBB11_40
; %bb.35:
	v_lshlrev_b32_e32 v1, 3, v3
	ds_read_b64 v[1:2], v1
	v_and_b32_e32 v4, 3, v3
	v_cmp_ne_u32_e32 vcc, 3, v4
	v_addc_co_u32_e32 v3, vcc, 0, v3, vcc
	v_lshlrev_b32_e32 v3, 2, v3
	s_waitcnt lgkmcnt(0)
	ds_bpermute_b32 v6, v3, v1
	ds_bpermute_b32 v3, v3, v2
	s_add_i32 s8, s33, 63
	s_lshr_b32 s10, s8, 6
	v_add_u32_e32 v7, 1, v4
	v_cmp_gt_u32_e32 vcc, s10, v7
	s_and_saveexec_b64 s[8:9], vcc
	s_cbranch_execz .LBB11_37
; %bb.36:
	s_waitcnt lgkmcnt(1)
	v_max_f32_e32 v6, v6, v6
	v_max_f32_e32 v1, v1, v1
	s_waitcnt lgkmcnt(0)
	v_max_f32_e32 v3, v3, v3
	v_max_f32_e32 v2, v2, v2
	v_min_f32_e32 v1, v1, v6
	v_max_f32_e32 v2, v2, v3
.LBB11_37:
	s_or_b64 exec, exec, s[8:9]
	s_waitcnt lgkmcnt(0)
	v_or_b32_e32 v3, 8, v5
	ds_bpermute_b32 v5, v3, v1
	ds_bpermute_b32 v3, v3, v2
	v_add_u32_e32 v4, 2, v4
	v_cmp_gt_u32_e32 vcc, s10, v4
	s_and_saveexec_b64 s[8:9], vcc
	s_cbranch_execz .LBB11_39
; %bb.38:
	s_waitcnt lgkmcnt(1)
	v_max_f32_e32 v4, v5, v5
	v_max_f32_e32 v1, v1, v1
	s_waitcnt lgkmcnt(0)
	v_max_f32_e32 v3, v3, v3
	v_max_f32_e32 v2, v2, v2
	v_min_f32_e32 v1, v1, v4
	v_max_f32_e32 v2, v2, v3
.LBB11_39:
	s_or_b64 exec, exec, s[8:9]
.LBB11_40:
	s_or_b64 exec, exec, s[2:3]
	v_cmp_eq_u32_e32 vcc, 0, v0
	s_and_saveexec_b64 s[2:3], vcc
	s_cbranch_execz .LBB11_42
; %bb.41:
	v_sub_f32_e32 v2, v2, v1
	s_mov_b32 s10, 0x437f0000
	s_waitcnt lgkmcnt(0)
	v_div_scale_f32 v3, s[8:9], s10, s10, v2
	v_div_scale_f32 v4, vcc, v2, s10, v2
	v_rcp_f32_e32 v5, v3
	v_fma_f32 v6, -v3, v5, 1.0
	v_fmac_f32_e32 v5, v6, v5
	v_mul_f32_e32 v6, v4, v5
	v_fma_f32 v7, -v3, v6, v4
	v_fmac_f32_e32 v6, v7, v5
	v_fma_f32 v3, -v3, v6, v4
	v_div_fmas_f32 v3, v3, v5, v6
	v_div_fixup_f32 v2, v3, s10, v2
	v_div_scale_f32 v3, s[8:9], v2, v2, v1
	v_div_scale_f32 v4, vcc, v1, v2, v1
	s_load_dwordx4 s[8:11], s[4:5], 0x10
	s_lshl_b64 s[4:5], s[6:7], 2
	s_waitcnt lgkmcnt(0)
	s_add_u32 s6, s8, s4
	s_addc_u32 s7, s9, s5
	s_add_u32 s4, s10, s4
	s_addc_u32 s5, s11, s5
	v_rcp_f32_e32 v5, v3
	v_fma_f32 v6, -v3, v5, 1.0
	v_fmac_f32_e32 v5, v6, v5
	v_mul_f32_e32 v6, v4, v5
	v_fma_f32 v7, -v3, v6, v4
	v_fmac_f32_e32 v6, v7, v5
	v_fma_f32 v3, -v3, v6, v4
	v_div_fmas_f32 v3, v3, v5, v6
	v_mov_b32_e32 v4, 0
	global_store_dword v4, v2, s[6:7]
	v_div_fixup_f32 v1, v3, v2, v1
	v_sub_f32_e32 v1, 0xc3000000, v1
	v_rndne_f32_e32 v1, v1
	v_cvt_i32_f32_e32 v1, v1
	ds_write_b64 v4, v[1:2] offset:32
	global_store_dword v4, v1, s[4:5]
.LBB11_42:
	s_or_b64 exec, exec, s[2:3]
	v_mov_b32_e32 v1, 0
	s_waitcnt vmcnt(0) lgkmcnt(0)
	s_barrier
	ds_read_b64 v[9:10], v1 offset:32
	s_add_u32 s72, s70, s68
	s_addc_u32 s73, s71, s69
	s_waitcnt lgkmcnt(0)
	v_div_scale_f32 v1, s[2:3], v10, v10, 1.0
	v_div_scale_f32 v2, vcc, 1.0, v10, 1.0
	s_mov_b64 s[2:3], -1
	v_rcp_f32_e32 v3, v1
	v_fma_f32 v4, -v1, v3, 1.0
	v_fmac_f32_e32 v3, v4, v3
	v_mul_f32_e32 v4, v2, v3
	v_fma_f32 v5, -v1, v4, v2
	v_fmac_f32_e32 v4, v5, v3
	v_fma_f32 v1, -v1, v4, v2
	v_div_fmas_f32 v1, v1, v3, v4
	s_and_b64 vcc, exec, s[0:1]
	v_div_fixup_f32 v16, v1, v10, 1.0
	s_cbranch_vccz .LBB11_140
; %bb.43:
	s_sub_i32 s0, 0, s84
	s_bfe_u32 s0, s0, 0x40001
	s_min_i32 s74, s0, s86
	v_cmp_gt_i32_e32 vcc, s74, v0
	s_and_saveexec_b64 s[0:1], vcc
	s_cbranch_execz .LBB11_55
; %bb.44:
	v_add_u32_e32 v1, 1, v0
	v_max_i32_e32 v1, s74, v1
	s_and_b32 s2, s33, 0xffff
	v_sub_u32_e32 v3, v1, v0
	s_cmp_eq_u32 s2, 1
	v_cmp_lt_u32_e32 vcc, 1, v3
	s_cselect_b64 s[2:3], -1, 0
	s_and_b64 s[6:7], vcc, s[2:3]
	s_mov_b64 s[4:5], -1
	v_mov_b32_e32 v1, v0
	s_and_saveexec_b64 s[2:3], s[6:7]
	s_cbranch_execz .LBB11_48
; %bb.45:
	v_and_b32_e32 v4, -2, v3
	s_mov_b64 s[4:5], 0
	v_mov_b32_e32 v2, 0
	v_mov_b32_e32 v5, s85
	s_mov_b32 s6, 0x4f000000
	s_mov_b32 s7, 0xcf000000
	v_mov_b32_e32 v6, 0xcf000000
	v_bfrev_b32_e32 v7, -2
	s_movk_i32 s8, 0xff80
	v_mov_b32_e32 v8, 0x7f
	v_mov_b32_e32 v1, v0
	;; [unrolled: 1-line block ×3, first 2 shown]
.LBB11_46:                              ; =>This Inner Loop Header: Depth=1
	v_lshlrev_b64 v[11:12], 1, v[1:2]
	v_add_u32_e32 v10, -2, v10
	v_add_co_u32_e32 v11, vcc, s84, v11
	v_addc_co_u32_e32 v12, vcc, v5, v12, vcc
	global_load_dword v11, v[11:12], off
	v_cmp_eq_u32_e32 vcc, 0, v10
	s_or_b64 s[4:5], vcc, s[4:5]
	s_waitcnt vmcnt(0)
	v_lshlrev_b32_e32 v12, 16, v11
	v_and_b32_e32 v11, 0xffff0000, v11
	v_mul_f32_e32 v12, v16, v12
	v_mul_f32_e32 v11, v16, v11
	v_rndne_f32_e32 v12, v12
	v_rndne_f32_e32 v11, v11
	v_cmp_nge_f32_e32 vcc, s7, v12
	v_cndmask_b32_e32 v13, v6, v12, vcc
	v_cmp_nge_f32_e32 vcc, s7, v11
	v_cvt_i32_f32_e32 v13, v13
	v_cndmask_b32_e32 v14, v6, v11, vcc
	v_cvt_i32_f32_e32 v14, v14
	v_cmp_nle_f32_e32 vcc, s6, v12
	v_cndmask_b32_e32 v12, v7, v13, vcc
	v_cmp_nle_f32_e32 vcc, s6, v11
	v_cndmask_b32_e32 v11, v7, v14, vcc
	v_add_u32_e32 v11, v11, v9
	v_add_u32_e32 v12, v12, v9
	v_med3_i32 v11, v11, s8, v8
	v_med3_i32 v12, v12, s8, v8
	v_lshlrev_b16_e32 v11, 8, v11
	v_or_b32_sdwa v11, v12, v11 dst_sel:DWORD dst_unused:UNUSED_PAD src0_sel:BYTE_0 src1_sel:DWORD
	global_store_short v1, v11, s[72:73]
	v_add_u32_e32 v1, 2, v1
	s_andn2_b64 exec, exec, s[4:5]
	s_cbranch_execnz .LBB11_46
; %bb.47:
	s_or_b64 exec, exec, s[4:5]
	v_cmp_ne_u32_e32 vcc, v3, v4
	v_add_u32_e32 v1, v0, v4
	s_orn2_b64 s[4:5], vcc, exec
.LBB11_48:
	s_or_b64 exec, exec, s[2:3]
	s_and_b64 exec, exec, s[4:5]
	s_cbranch_execz .LBB11_55
; %bb.49:
	v_mov_b32_e32 v2, 0
	v_lshlrev_b64 v[2:3], 1, v[1:2]
	s_add_u32 s2, s64, s66
	s_addc_u32 s3, s65, s67
	v_mov_b32_e32 v4, s3
	v_add_co_u32_e32 v2, vcc, s2, v2
	v_addc_co_u32_e32 v3, vcc, v4, v3, vcc
	v_mov_b32_e32 v5, s73
	v_add_co_u32_e32 v4, vcc, s72, v1
	s_lshl_b32 s10, s33, 1
	v_addc_co_u32_e32 v5, vcc, 0, v5, vcc
	s_mov_b64 s[2:3], 0
	s_mov_b32 s11, 0x4f000000
	s_mov_b32 s12, 0xcf000000
	s_movk_i32 s13, 0xff80
	v_mov_b32_e32 v6, 0x7f
	s_mov_b64 s[4:5], 0
	s_branch .LBB11_52
.LBB11_50:                              ;   in Loop: Header=BB11_52 Depth=1
	s_or_b64 exec, exec, s[8:9]
.LBB11_51:                              ;   in Loop: Header=BB11_52 Depth=1
	s_or_b64 exec, exec, s[6:7]
	v_mov_b32_e32 v8, s5
	v_add_co_u32_e32 v10, vcc, s4, v4
	v_add_u32_e32 v7, v7, v9
	v_addc_co_u32_e32 v11, vcc, v5, v8, vcc
	v_med3_i32 v7, v7, s13, v6
	s_add_u32 s4, s4, s33
	global_store_byte v[10:11], v7, off
	v_add_u32_e32 v7, s4, v1
	s_addc_u32 s5, s5, 0
	v_cmp_le_i32_e32 vcc, s74, v7
	s_or_b64 s[2:3], vcc, s[2:3]
	v_add_co_u32_e32 v2, vcc, s10, v2
	v_addc_co_u32_e32 v3, vcc, 0, v3, vcc
	s_andn2_b64 exec, exec, s[2:3]
	s_cbranch_execz .LBB11_55
.LBB11_52:                              ; =>This Inner Loop Header: Depth=1
	global_load_ushort v7, v[2:3], off
	s_waitcnt vmcnt(0)
	v_lshlrev_b32_e32 v7, 16, v7
	v_mul_f32_e32 v7, v16, v7
	v_rndne_f32_e32 v8, v7
	v_cmp_nle_f32_e32 vcc, s11, v8
	v_bfrev_b32_e32 v7, -2
	s_and_saveexec_b64 s[6:7], vcc
	s_cbranch_execz .LBB11_51
; %bb.53:                               ;   in Loop: Header=BB11_52 Depth=1
	v_cmp_nge_f32_e32 vcc, s12, v8
	v_bfrev_b32_e32 v7, 1
	s_and_saveexec_b64 s[8:9], vcc
	s_cbranch_execz .LBB11_50
; %bb.54:                               ;   in Loop: Header=BB11_52 Depth=1
	v_cvt_i32_f32_e32 v7, v8
	s_branch .LBB11_50
.LBB11_55:
	s_or_b64 exec, exec, s[0:1]
	s_ashr_i32 s75, s74, 31
	s_lshl_b64 s[76:77], s[74:75], 1
	s_add_u32 s88, s84, s76
	s_addc_u32 s11, s85, s77
	s_add_u32 s89, s72, s74
	s_addc_u32 s91, s73, s75
	s_sub_i32 s87, s86, s74
	s_ashr_i32 s0, s87, 31
	s_lshr_b32 s0, s0, 28
	s_add_i32 s0, s87, s0
	s_ashr_i32 s92, s0, 4
	v_cmp_gt_i32_e32 vcc, s92, v0
	s_and_saveexec_b64 s[78:79], vcc
	s_cbranch_execz .LBB11_127
; %bb.56:
	v_add_u32_e32 v1, 1, v0
	v_max_i32_e32 v2, s92, v1
	s_and_b32 s0, s33, 0xffff
	v_sub_u32_e32 v11, v2, v0
	s_cmp_eq_u32 s0, 1
	v_cmp_lt_u32_e32 vcc, 1, v11
	s_cselect_b64 s[0:1], -1, 0
	s_and_b64 s[2:3], vcc, s[0:1]
	s_mov_b64 s[0:1], -1
	v_mov_b32_e32 v10, v0
	s_and_saveexec_b64 s[80:81], s[2:3]
	s_cbranch_execz .LBB11_60
; %bb.57:
	v_and_b32_e32 v12, -2, v11
	v_mov_b32_e32 v4, v1
	s_mov_b64 s[82:83], 0
	v_mov_b32_e32 v2, 0
                                        ; implicit-def: $vgpr61 : SGPR spill to VGPR lane
	v_mov_b32_e32 v10, s11
	s_mov_b32 s93, 0x4f000000
	s_mov_b32 s94, 0xcf000000
	v_mov_b32_e32 v13, 0xcf000000
	v_bfrev_b32_e32 v14, -2
	s_movk_i32 s95, 0xff80
	v_mov_b32_e32 v15, 0x7f
	v_mov_b32_e32 v17, s91
	s_mov_b32 s90, 0xc0c0004
	v_mov_b32_e32 v18, v12
	v_mov_b32_e32 v3, v0
	v_writelane_b32 v61, s11, 0
.LBB11_58:                              ; =>This Inner Loop Header: Depth=1
	v_mov_b32_e32 v1, v3
	v_add_u32_e32 v18, -2, v18
	v_lshlrev_b64 v[7:8], 5, v[1:2]
	v_mov_b32_e32 v5, v4
	v_mov_b32_e32 v6, v2
	v_cmp_eq_u32_e32 vcc, 0, v18
	v_lshlrev_b64 v[19:20], 5, v[5:6]
	s_or_b64 s[82:83], vcc, s[82:83]
	v_add_co_u32_e32 v27, vcc, s88, v7
	v_addc_co_u32_e32 v28, vcc, v10, v8, vcc
	v_lshlrev_b64 v[21:22], 4, v[1:2]
	v_add_co_u32_e32 v31, vcc, s88, v19
	v_addc_co_u32_e32 v32, vcc, v10, v20, vcc
	v_lshlrev_b64 v[23:24], 4, v[5:6]
	v_add_co_u32_e32 v5, vcc, s89, v21
	v_addc_co_u32_e32 v6, vcc, v17, v22, vcc
	v_add_co_u32_e32 v7, vcc, s89, v23
	v_addc_co_u32_e32 v8, vcc, v17, v24, vcc
	global_load_dwordx4 v[19:22], v[31:32], off
	global_load_dwordx4 v[23:26], v[27:28], off
	s_nop 0
	global_load_dwordx4 v[27:30], v[27:28], off offset:16
	s_nop 0
	global_load_dwordx4 v[31:34], v[31:32], off offset:16
	v_add_u32_e32 v4, 2, v4
	v_add_u32_e32 v3, 2, v3
	s_waitcnt vmcnt(3)
	v_lshlrev_b32_e32 v1, 16, v19
	s_waitcnt vmcnt(2)
	v_lshlrev_b32_e32 v38, 16, v23
	v_and_b32_e32 v23, 0xffff0000, v23
	v_lshlrev_b32_e32 v39, 16, v24
	v_mul_f32_e32 v23, v16, v23
	v_and_b32_e32 v19, 0xffff0000, v19
	v_and_b32_e32 v24, 0xffff0000, v24
	s_waitcnt vmcnt(0)
	v_lshlrev_b32_e32 v46, 16, v31
	v_mul_f32_e32 v39, v16, v39
	v_rndne_f32_e32 v23, v23
	v_lshlrev_b32_e32 v40, 16, v25
	v_mul_f32_e32 v24, v16, v24
	v_mul_f32_e32 v38, v16, v38
	;; [unrolled: 1-line block ×4, first 2 shown]
	v_rndne_f32_e32 v39, v39
	v_cmp_nge_f32_e32 vcc, s94, v23
	v_and_b32_e32 v25, 0xffff0000, v25
	v_mul_f32_e32 v40, v16, v40
	v_mul_f32_e32 v50, v16, v1
	v_rndne_f32_e32 v24, v24
	v_rndne_f32_e32 v1, v38
	;; [unrolled: 1-line block ×4, first 2 shown]
	v_cndmask_b32_e32 v46, v13, v23, vcc
	v_cmp_nge_f32_e32 vcc, s94, v39
	v_lshlrev_b32_e32 v41, 16, v26
	v_mul_f32_e32 v25, v16, v25
	v_rndne_f32_e32 v40, v40
	v_cndmask_b32_e32 v51, v13, v39, vcc
	v_cmp_nge_f32_e32 vcc, s94, v24
	v_and_b32_e32 v26, 0xffff0000, v26
	v_mul_f32_e32 v41, v16, v41
	v_rndne_f32_e32 v25, v25
	v_cndmask_b32_e32 v52, v13, v24, vcc
	v_cmp_nge_f32_e32 vcc, s94, v40
	v_mul_f32_e32 v26, v16, v26
	v_rndne_f32_e32 v41, v41
	v_cndmask_b32_e32 v53, v13, v40, vcc
	v_cmp_nge_f32_e32 vcc, s94, v25
	v_rndne_f32_e32 v26, v26
	v_cndmask_b32_e32 v54, v13, v25, vcc
	v_cmp_nge_f32_e32 vcc, s94, v41
	v_lshlrev_b32_e32 v35, 16, v20
	v_cndmask_b32_e32 v55, v13, v41, vcc
	v_cmp_nge_f32_e32 vcc, s94, v26
	v_and_b32_e32 v20, 0xffff0000, v20
	v_lshlrev_b32_e32 v36, 16, v21
	v_and_b32_e32 v21, 0xffff0000, v21
	v_lshlrev_b32_e32 v37, 16, v22
	v_mul_f32_e32 v35, v16, v35
	v_cndmask_b32_e32 v56, v13, v26, vcc
	v_cmp_nge_f32_e32 vcc, s94, v1
	v_and_b32_e32 v22, 0xffff0000, v22
	v_mul_f32_e32 v20, v16, v20
	v_mul_f32_e32 v36, v16, v36
	;; [unrolled: 1-line block ×4, first 2 shown]
	v_rndne_f32_e32 v35, v35
	v_cndmask_b32_e32 v57, v13, v1, vcc
	v_cmp_nge_f32_e32 vcc, s94, v38
	v_mul_f32_e32 v22, v16, v22
	v_rndne_f32_e32 v20, v20
	v_rndne_f32_e32 v36, v36
	;; [unrolled: 1-line block ×4, first 2 shown]
	v_cndmask_b32_e32 v58, v13, v38, vcc
	v_cmp_nge_f32_e32 vcc, s94, v35
	v_lshlrev_b32_e32 v42, 16, v27
	v_and_b32_e32 v27, 0xffff0000, v27
	v_rndne_f32_e32 v22, v22
	v_cndmask_b32_e32 v59, v13, v35, vcc
	v_cmp_nge_f32_e32 vcc, s94, v20
	v_cmp_nge_f32_e64 s[0:1], s94, v36
	v_cmp_nge_f32_e64 s[2:3], s94, v21
	;; [unrolled: 1-line block ×3, first 2 shown]
	v_lshlrev_b32_e32 v43, 16, v28
	v_mul_f32_e32 v27, v16, v27
	v_rndne_f32_e32 v50, v50
	v_cndmask_b32_e32 v60, v13, v20, vcc
	v_cmp_nle_f32_e32 vcc, s93, v23
	v_cndmask_b32_e64 v23, v13, v36, s[0:1]
	v_cmp_nle_f32_e64 s[0:1], s93, v39
	v_cndmask_b32_e64 v39, v13, v21, s[2:3]
	v_cmp_nle_f32_e64 s[2:3], s93, v24
	v_cndmask_b32_e64 v24, v13, v37, s[4:5]
	v_cmp_nge_f32_e64 s[4:5], s94, v22
	v_and_b32_e32 v28, 0xffff0000, v28
	v_mul_f32_e32 v43, v16, v43
	v_rndne_f32_e32 v27, v27
	v_cmp_nle_f32_e64 s[6:7], s93, v40
	v_cndmask_b32_e64 v40, v13, v22, s[4:5]
	v_cmp_nge_f32_e64 s[4:5], s94, v50
	v_mul_f32_e32 v28, v16, v28
	v_rndne_f32_e32 v43, v43
	v_cmp_nle_f32_e64 s[8:9], s93, v25
	v_cndmask_b32_e64 v25, v13, v50, s[4:5]
	v_cmp_nge_f32_e64 s[4:5], s94, v27
	v_and_b32_e32 v31, 0xffff0000, v31
	v_mul_f32_e32 v42, v16, v42
	v_rndne_f32_e32 v28, v28
	v_cmp_nle_f32_e64 s[10:11], s93, v41
	v_cndmask_b32_e64 v41, v13, v27, s[4:5]
	v_cmp_nge_f32_e64 s[4:5], s94, v43
	v_lshlrev_b32_e32 v47, 16, v32
	v_mul_f32_e32 v31, v16, v31
	v_rndne_f32_e32 v42, v42
	v_cmp_nle_f32_e64 s[12:13], s93, v26
	v_cndmask_b32_e64 v26, v13, v43, s[4:5]
	v_cmp_nge_f32_e64 s[4:5], s94, v28
	v_and_b32_e32 v32, 0xffff0000, v32
	v_mul_f32_e32 v47, v16, v47
	v_rndne_f32_e32 v31, v31
	v_cmp_nle_f32_e64 s[14:15], s93, v38
	v_cndmask_b32_e64 v38, v13, v28, s[4:5]
	v_cmp_nge_f32_e64 s[4:5], s94, v42
	v_lshlrev_b32_e32 v44, 16, v29
	v_mul_f32_e32 v32, v16, v32
	v_rndne_f32_e32 v47, v47
	v_cmp_nle_f32_e64 s[16:17], s93, v35
	v_cndmask_b32_e64 v35, v13, v42, s[4:5]
	v_cmp_nge_f32_e64 s[4:5], s94, v31
	v_lshlrev_b32_e32 v48, 16, v33
	v_mul_f32_e32 v44, v16, v44
	v_rndne_f32_e32 v32, v32
	v_cmp_nle_f32_e64 s[18:19], s93, v20
	v_cndmask_b32_e64 v20, v13, v31, s[4:5]
	v_cmp_nge_f32_e64 s[4:5], s94, v47
	v_and_b32_e32 v29, 0xffff0000, v29
	v_mul_f32_e32 v48, v16, v48
	v_rndne_f32_e32 v44, v44
	v_cmp_nle_f32_e64 s[20:21], s93, v36
	v_cndmask_b32_e64 v36, v13, v47, s[4:5]
	v_cmp_nge_f32_e64 s[4:5], s94, v32
	v_and_b32_e32 v33, 0xffff0000, v33
	v_mul_f32_e32 v29, v16, v29
	v_rndne_f32_e32 v48, v48
	v_cmp_nle_f32_e64 s[22:23], s93, v21
	v_cndmask_b32_e64 v21, v13, v32, s[4:5]
	v_cmp_nge_f32_e64 s[4:5], s94, v44
	v_lshlrev_b32_e32 v49, 16, v34
	v_mul_f32_e32 v33, v16, v33
	v_rndne_f32_e32 v29, v29
	v_cmp_nle_f32_e64 s[24:25], s93, v37
	v_cndmask_b32_e64 v37, v13, v44, s[4:5]
	v_cmp_nge_f32_e64 s[4:5], s94, v48
	v_lshlrev_b32_e32 v45, 16, v30
	v_mul_f32_e32 v49, v16, v49
	v_rndne_f32_e32 v33, v33
	v_cmp_nle_f32_e64 s[26:27], s93, v22
	v_cndmask_b32_e64 v22, v13, v48, s[4:5]
	v_cmp_nge_f32_e64 s[4:5], s94, v29
	v_and_b32_e32 v34, 0xffff0000, v34
	v_mul_f32_e32 v45, v16, v45
	v_rndne_f32_e32 v49, v49
	v_cmp_nle_f32_e64 s[28:29], s93, v50
	v_cndmask_b32_e64 v50, v13, v29, s[4:5]
	v_cmp_nge_f32_e64 s[4:5], s94, v33
	v_and_b32_e32 v30, 0xffff0000, v30
	v_mul_f32_e32 v34, v16, v34
	v_rndne_f32_e32 v45, v45
	v_cmp_nle_f32_e64 s[30:31], s93, v27
	v_cndmask_b32_e64 v27, v13, v33, s[4:5]
	v_cmp_nge_f32_e64 s[4:5], s94, v49
	v_mul_f32_e32 v30, v16, v30
	v_rndne_f32_e32 v34, v34
	v_cmp_nle_f32_e64 s[34:35], s93, v43
	v_cndmask_b32_e64 v43, v13, v49, s[4:5]
	v_cmp_nge_f32_e64 s[4:5], s94, v45
	v_rndne_f32_e32 v30, v30
	v_cmp_nle_f32_e64 s[36:37], s93, v28
	v_cndmask_b32_e64 v28, v13, v45, s[4:5]
	v_cmp_nge_f32_e64 s[4:5], s94, v34
	v_cmp_nle_f32_e64 s[38:39], s93, v42
	v_cndmask_b32_e64 v42, v13, v34, s[4:5]
	v_cmp_nge_f32_e64 s[4:5], s94, v30
	;; [unrolled: 3-line block ×3, first 2 shown]
	v_cvt_i32_f32_e32 v46, v46
	v_cvt_i32_f32_e32 v51, v51
	;; [unrolled: 1-line block ×3, first 2 shown]
	v_cmp_nle_f32_e64 s[42:43], s93, v47
	v_cndmask_b32_e64 v47, v13, v19, s[4:5]
	v_cvt_i32_f32_e32 v57, v57
	v_cvt_i32_f32_e32 v22, v22
	;; [unrolled: 1-line block ×3, first 2 shown]
	v_cmp_nle_f32_e64 s[50:51], s93, v33
	v_cvt_i32_f32_e32 v33, v42
	v_cvt_i32_f32_e32 v53, v53
	;; [unrolled: 1-line block ×20, first 2 shown]
	v_cmp_nle_f32_e64 s[4:5], s93, v32
	v_cvt_i32_f32_e32 v32, v37
	v_cvt_i32_f32_e32 v37, v50
	v_cmp_nle_f32_e64 s[48:49], s93, v29
	v_cvt_i32_f32_e32 v29, v43
	v_cvt_i32_f32_e32 v28, v28
	;; [unrolled: 1-line block ×3, first 2 shown]
	v_cmp_nle_f32_e64 s[58:59], s93, v30
	v_cvt_i32_f32_e32 v30, v47
	v_cmp_nle_f32_e64 s[46:47], s93, v48
	v_cmp_nle_f32_e64 s[56:57], s93, v34
	;; [unrolled: 1-line block ×7, first 2 shown]
	v_cndmask_b32_e64 v1, v14, v57, s[62:63]
	v_cndmask_b32_e32 v19, v14, v46, vcc
	v_cndmask_b32_e64 v34, v14, v51, s[0:1]
	v_cndmask_b32_e64 v42, v14, v52, s[2:3]
	v_cndmask_b32_e64 v22, v14, v22, s[46:47]
	v_cndmask_b32_e64 v27, v14, v27, s[50:51]
	v_cndmask_b32_e64 v33, v14, v33, s[56:57]
	v_cndmask_b32_e64 v43, v14, v53, s[6:7]
	v_cndmask_b32_e64 v44, v14, v54, s[8:9]
	v_cndmask_b32_e64 v45, v14, v55, s[10:11]
	v_cndmask_b32_e64 v46, v14, v56, s[12:13]
	v_cndmask_b32_e64 v25, v14, v25, s[28:29]
	v_cndmask_b32_e64 v47, v14, v58, s[14:15]
	v_cndmask_b32_e64 v48, v14, v59, s[16:17]
	v_cndmask_b32_e64 v49, v14, v60, s[18:19]
	v_cndmask_b32_e64 v23, v14, v23, s[20:21]
	v_cndmask_b32_e64 v39, v14, v39, s[22:23]
	v_cndmask_b32_e64 v24, v14, v24, s[24:25]
	v_cndmask_b32_e64 v40, v14, v40, s[26:27]
	v_cndmask_b32_e64 v35, v14, v35, s[38:39]
	v_cndmask_b32_e64 v41, v14, v41, s[30:31]
	v_cndmask_b32_e64 v26, v14, v26, s[34:35]
	v_cndmask_b32_e64 v38, v14, v38, s[36:37]
	v_cndmask_b32_e64 v30, v14, v30, s[60:61]
	v_cndmask_b32_e64 v20, v14, v20, s[40:41]
	v_cndmask_b32_e64 v36, v14, v36, s[42:43]
	v_cndmask_b32_e64 v21, v14, v21, s[4:5]
	v_cndmask_b32_e64 v32, v14, v32, s[44:45]
	v_cndmask_b32_e64 v37, v14, v37, s[48:49]
	v_cndmask_b32_e64 v28, v14, v28, s[54:55]
	v_cndmask_b32_e64 v31, v14, v31, s[58:59]
	v_cndmask_b32_e64 v29, v14, v29, s[52:53]
	v_add_u32_e32 v1, v1, v9
	v_add_u32_e32 v19, v19, v9
	;; [unrolled: 1-line block ×32, first 2 shown]
	v_med3_i32 v1, v1, s95, v15
	v_med3_i32 v19, v19, s95, v15
	;; [unrolled: 1-line block ×32, first 2 shown]
	v_perm_b32 v1, v1, v19, s90
	v_perm_b32 v19, v34, v42, s90
	v_perm_b32 v27, v22, v27, s90
	v_lshlrev_b16_e32 v22, 8, v33
	v_perm_b32 v34, v43, v44, s90
	v_perm_b32 v42, v45, v46, s90
	v_perm_b32 v25, v25, v47, s90
	v_perm_b32 v43, v48, v49, s90
	v_perm_b32 v39, v23, v39, s90
	v_perm_b32 v24, v24, v40, s90
	v_perm_b32 v35, v35, v41, s90
	v_perm_b32 v26, v26, v38, s90
	v_perm_b32 v30, v30, v20, s90
	v_perm_b32 v36, v36, v21, s90
	v_perm_b32 v32, v32, v37, s90
	v_perm_b32 v28, v28, v31, s90
	v_lshl_or_b32 v19, v19, 16, v1
	v_or_b32_sdwa v1, v29, v22 dst_sel:WORD_1 dst_unused:UNUSED_PAD src0_sel:BYTE_0 src1_sel:DWORD
	v_lshl_or_b32 v20, v42, 16, v34
	v_lshl_or_b32 v23, v43, 16, v25
	v_lshl_or_b32 v24, v24, 16, v39
	v_lshl_or_b32 v21, v26, 16, v35
	v_lshl_or_b32 v25, v36, 16, v30
	v_lshl_or_b32 v22, v28, 16, v32
	v_or_b32_e32 v26, v27, v1
	global_store_dwordx4 v[5:6], v[19:22], off
	global_store_dwordx4 v[7:8], v[23:26], off
	s_andn2_b64 exec, exec, s[82:83]
	s_cbranch_execnz .LBB11_58
; %bb.59:
	s_or_b64 exec, exec, s[82:83]
	v_cmp_ne_u32_e32 vcc, v11, v12
	v_add_u32_e32 v10, v0, v12
	s_orn2_b64 s[0:1], vcc, exec
	v_readlane_b32 s11, v61, 0
.LBB11_60:
	s_or_b64 exec, exec, s[80:81]
	s_and_b64 exec, exec, s[0:1]
	s_cbranch_execz .LBB11_127
; %bb.61:
	s_add_u32 s0, s74, s68
	s_addc_u32 s1, s75, s69
	v_mov_b32_e32 v11, 0
	v_lshlrev_b64 v[1:2], 4, v[10:11]
	s_add_u32 s0, s70, s0
	s_addc_u32 s1, s71, s1
	v_mov_b32_e32 v3, s1
	v_add_co_u32_e32 v1, vcc, s0, v1
	s_lshl_b32 s6, s33, 4
	v_addc_co_u32_e32 v2, vcc, v3, v2, vcc
	s_add_u32 s0, s64, s76
	v_add_co_u32_e32 v12, vcc, 7, v1
	s_addc_u32 s1, s65, s77
	v_addc_co_u32_e32 v13, vcc, 0, v2, vcc
	v_lshlrev_b64 v[1:2], 5, v[10:11]
	s_add_u32 s0, s0, s66
	s_addc_u32 s1, s1, s67
	v_mov_b32_e32 v3, s1
	v_add_co_u32_e32 v14, vcc, s0, v1
	v_addc_co_u32_e32 v15, vcc, v3, v2, vcc
	s_lshl_b32 s7, s33, 5
	s_mov_b64 s[0:1], 0
	s_mov_b32 s8, 0x4f000000
	s_mov_b32 s9, 0xcf000000
	s_movk_i32 s10, 0xff80
	v_mov_b32_e32 v11, 0x7f
	s_branch .LBB11_64
.LBB11_62:                              ;   in Loop: Header=BB11_64 Depth=1
	s_or_b64 exec, exec, s[4:5]
.LBB11_63:                              ;   in Loop: Header=BB11_64 Depth=1
	s_or_b64 exec, exec, s[2:3]
	v_add_u32_e32 v24, v24, v9
	v_add_u32_e32 v3, v3, v9
	;; [unrolled: 1-line block ×3, first 2 shown]
	v_med3_i32 v24, v24, s10, v11
	v_add_u32_e32 v2, v2, v9
	v_med3_i32 v3, v3, s10, v11
	v_med3_i32 v4, v4, s10, v11
	;; [unrolled: 1-line block ×3, first 2 shown]
	v_add_u32_e32 v23, v23, v9
	v_add_u32_e32 v22, v22, v9
	v_lshlrev_b16_e32 v24, 8, v24
	v_lshlrev_b16_e32 v3, 8, v3
	v_med3_i32 v23, v23, s10, v11
	v_add_u32_e32 v1, v1, v9
	v_med3_i32 v22, v22, s10, v11
	v_add_u32_e32 v8, v8, v9
	v_or_b32_sdwa v2, v2, v24 dst_sel:DWORD dst_unused:UNUSED_PAD src0_sel:BYTE_0 src1_sel:DWORD
	v_or_b32_sdwa v3, v4, v3 dst_sel:WORD_1 dst_unused:UNUSED_PAD src0_sel:BYTE_0 src1_sel:DWORD
	v_med3_i32 v1, v1, s10, v11
	v_med3_i32 v8, v8, s10, v11
	v_add_u32_e32 v21, v21, v9
	v_add_u32_e32 v20, v20, v9
	v_or_b32_sdwa v4, v2, v3 dst_sel:DWORD dst_unused:UNUSED_PAD src0_sel:WORD_0 src1_sel:DWORD
	v_lshlrev_b16_e32 v2, 8, v22
	v_lshlrev_b16_e32 v3, 8, v23
	v_med3_i32 v21, v21, s10, v11
	v_add_u32_e32 v7, v7, v9
	v_med3_i32 v20, v20, s10, v11
	v_add_u32_e32 v6, v6, v9
	v_or_b32_sdwa v2, v8, v2 dst_sel:DWORD dst_unused:UNUSED_PAD src0_sel:BYTE_0 src1_sel:DWORD
	v_or_b32_sdwa v1, v1, v3 dst_sel:WORD_1 dst_unused:UNUSED_PAD src0_sel:BYTE_0 src1_sel:DWORD
	v_med3_i32 v7, v7, s10, v11
	v_med3_i32 v6, v6, s10, v11
	v_add_u32_e32 v19, v19, v9
	v_add_u32_e32 v17, v17, v9
	v_or_b32_sdwa v3, v2, v1 dst_sel:DWORD dst_unused:UNUSED_PAD src0_sel:WORD_0 src1_sel:DWORD
	v_lshlrev_b16_e32 v1, 8, v20
	v_lshlrev_b16_e32 v2, 8, v21
	v_med3_i32 v19, v19, s10, v11
	v_add_u32_e32 v5, v5, v9
	v_med3_i32 v17, v17, s10, v11
	v_add_u32_e32 v18, v18, v9
	v_or_b32_sdwa v1, v6, v1 dst_sel:DWORD dst_unused:UNUSED_PAD src0_sel:BYTE_0 src1_sel:DWORD
	v_or_b32_sdwa v2, v7, v2 dst_sel:WORD_1 dst_unused:UNUSED_PAD src0_sel:BYTE_0 src1_sel:DWORD
	v_med3_i32 v5, v5, s10, v11
	v_med3_i32 v18, v18, s10, v11
	v_or_b32_sdwa v2, v1, v2 dst_sel:DWORD dst_unused:UNUSED_PAD src0_sel:WORD_0 src1_sel:DWORD
	v_lshlrev_b16_e32 v1, 8, v17
	v_lshlrev_b16_e32 v6, 8, v19
	v_or_b32_sdwa v1, v18, v1 dst_sel:DWORD dst_unused:UNUSED_PAD src0_sel:BYTE_0 src1_sel:DWORD
	v_or_b32_sdwa v5, v5, v6 dst_sel:WORD_1 dst_unused:UNUSED_PAD src0_sel:BYTE_0 src1_sel:DWORD
	v_or_b32_sdwa v1, v1, v5 dst_sel:DWORD dst_unused:UNUSED_PAD src0_sel:WORD_0 src1_sel:DWORD
	global_store_dwordx4 v[12:13], v[1:4], off offset:-7
	v_add_co_u32_e32 v12, vcc, s6, v12
	v_add_u32_e32 v10, s33, v10
	v_addc_co_u32_e32 v13, vcc, 0, v13, vcc
	v_cmp_le_i32_e32 vcc, s92, v10
	s_or_b64 s[0:1], vcc, s[0:1]
	v_add_co_u32_e32 v14, vcc, s7, v14
	v_addc_co_u32_e32 v15, vcc, 0, v15, vcc
	s_andn2_b64 exec, exec, s[0:1]
	s_cbranch_execz .LBB11_127
.LBB11_64:                              ; =>This Inner Loop Header: Depth=1
	global_load_dwordx4 v[5:8], v[14:15], off
	global_load_dwordx4 v[1:4], v[14:15], off offset:16
	v_bfrev_b32_e32 v17, -2
	s_waitcnt vmcnt(1)
	v_lshlrev_b32_e32 v18, 16, v5
	v_mul_f32_e32 v18, v16, v18
	v_rndne_f32_e32 v19, v18
	v_cmp_nle_f32_e32 vcc, s8, v19
	v_bfrev_b32_e32 v18, -2
	s_and_saveexec_b64 s[2:3], vcc
	s_cbranch_execz .LBB11_68
; %bb.65:                               ;   in Loop: Header=BB11_64 Depth=1
	v_cmp_nge_f32_e32 vcc, s9, v19
	v_bfrev_b32_e32 v18, 1
	s_and_saveexec_b64 s[4:5], vcc
; %bb.66:                               ;   in Loop: Header=BB11_64 Depth=1
	v_cvt_i32_f32_e32 v18, v19
; %bb.67:                               ;   in Loop: Header=BB11_64 Depth=1
	s_or_b64 exec, exec, s[4:5]
.LBB11_68:                              ;   in Loop: Header=BB11_64 Depth=1
	s_or_b64 exec, exec, s[2:3]
	v_and_b32_e32 v5, 0xffff0000, v5
	v_mul_f32_e32 v5, v16, v5
	v_rndne_f32_e32 v5, v5
	v_cmp_nle_f32_e32 vcc, s8, v5
	s_and_saveexec_b64 s[2:3], vcc
	s_cbranch_execz .LBB11_72
; %bb.69:                               ;   in Loop: Header=BB11_64 Depth=1
	v_cmp_nge_f32_e32 vcc, s9, v5
	v_bfrev_b32_e32 v17, 1
	s_and_saveexec_b64 s[4:5], vcc
; %bb.70:                               ;   in Loop: Header=BB11_64 Depth=1
	v_cvt_i32_f32_e32 v17, v5
; %bb.71:                               ;   in Loop: Header=BB11_64 Depth=1
	s_or_b64 exec, exec, s[4:5]
.LBB11_72:                              ;   in Loop: Header=BB11_64 Depth=1
	s_or_b64 exec, exec, s[2:3]
	v_lshlrev_b32_e32 v5, 16, v6
	v_mul_f32_e32 v5, v16, v5
	v_rndne_f32_e32 v20, v5
	v_cmp_nle_f32_e32 vcc, s8, v20
	v_bfrev_b32_e32 v19, -2
	v_bfrev_b32_e32 v5, -2
	s_and_saveexec_b64 s[2:3], vcc
	s_cbranch_execz .LBB11_76
; %bb.73:                               ;   in Loop: Header=BB11_64 Depth=1
	v_cmp_nge_f32_e32 vcc, s9, v20
	v_bfrev_b32_e32 v5, 1
	s_and_saveexec_b64 s[4:5], vcc
; %bb.74:                               ;   in Loop: Header=BB11_64 Depth=1
	v_cvt_i32_f32_e32 v5, v20
; %bb.75:                               ;   in Loop: Header=BB11_64 Depth=1
	s_or_b64 exec, exec, s[4:5]
.LBB11_76:                              ;   in Loop: Header=BB11_64 Depth=1
	s_or_b64 exec, exec, s[2:3]
	v_and_b32_e32 v6, 0xffff0000, v6
	v_mul_f32_e32 v6, v16, v6
	v_rndne_f32_e32 v6, v6
	v_cmp_nle_f32_e32 vcc, s8, v6
	s_and_saveexec_b64 s[2:3], vcc
	s_cbranch_execz .LBB11_80
; %bb.77:                               ;   in Loop: Header=BB11_64 Depth=1
	v_cmp_nge_f32_e32 vcc, s9, v6
	v_bfrev_b32_e32 v19, 1
	s_and_saveexec_b64 s[4:5], vcc
; %bb.78:                               ;   in Loop: Header=BB11_64 Depth=1
	v_cvt_i32_f32_e32 v19, v6
; %bb.79:                               ;   in Loop: Header=BB11_64 Depth=1
	s_or_b64 exec, exec, s[4:5]
.LBB11_80:                              ;   in Loop: Header=BB11_64 Depth=1
	s_or_b64 exec, exec, s[2:3]
	v_lshlrev_b32_e32 v6, 16, v7
	v_mul_f32_e32 v6, v16, v6
	v_rndne_f32_e32 v21, v6
	v_cmp_nle_f32_e32 vcc, s8, v21
	v_bfrev_b32_e32 v20, -2
	;; [unrolled: 34-line block ×3, first 2 shown]
	v_bfrev_b32_e32 v7, -2
	s_and_saveexec_b64 s[2:3], vcc
	s_cbranch_execz .LBB11_92
; %bb.89:                               ;   in Loop: Header=BB11_64 Depth=1
	v_cmp_nge_f32_e32 vcc, s9, v22
	v_bfrev_b32_e32 v7, 1
	s_and_saveexec_b64 s[4:5], vcc
; %bb.90:                               ;   in Loop: Header=BB11_64 Depth=1
	v_cvt_i32_f32_e32 v7, v22
; %bb.91:                               ;   in Loop: Header=BB11_64 Depth=1
	s_or_b64 exec, exec, s[4:5]
.LBB11_92:                              ;   in Loop: Header=BB11_64 Depth=1
	s_or_b64 exec, exec, s[2:3]
	v_and_b32_e32 v8, 0xffff0000, v8
	v_mul_f32_e32 v8, v16, v8
	v_rndne_f32_e32 v8, v8
	v_cmp_nle_f32_e32 vcc, s8, v8
	s_and_saveexec_b64 s[2:3], vcc
	s_cbranch_execz .LBB11_96
; %bb.93:                               ;   in Loop: Header=BB11_64 Depth=1
	v_cmp_nge_f32_e32 vcc, s9, v8
	v_bfrev_b32_e32 v21, 1
	s_and_saveexec_b64 s[4:5], vcc
; %bb.94:                               ;   in Loop: Header=BB11_64 Depth=1
	v_cvt_i32_f32_e32 v21, v8
; %bb.95:                               ;   in Loop: Header=BB11_64 Depth=1
	s_or_b64 exec, exec, s[4:5]
.LBB11_96:                              ;   in Loop: Header=BB11_64 Depth=1
	s_or_b64 exec, exec, s[2:3]
	s_waitcnt vmcnt(0)
	v_lshlrev_b32_e32 v8, 16, v1
	v_mul_f32_e32 v8, v16, v8
	v_rndne_f32_e32 v23, v8
	v_cmp_nle_f32_e32 vcc, s8, v23
	v_bfrev_b32_e32 v22, -2
	v_bfrev_b32_e32 v8, -2
	s_and_saveexec_b64 s[2:3], vcc
	s_cbranch_execz .LBB11_100
; %bb.97:                               ;   in Loop: Header=BB11_64 Depth=1
	v_cmp_nge_f32_e32 vcc, s9, v23
	v_bfrev_b32_e32 v8, 1
	s_and_saveexec_b64 s[4:5], vcc
; %bb.98:                               ;   in Loop: Header=BB11_64 Depth=1
	v_cvt_i32_f32_e32 v8, v23
; %bb.99:                               ;   in Loop: Header=BB11_64 Depth=1
	s_or_b64 exec, exec, s[4:5]
.LBB11_100:                             ;   in Loop: Header=BB11_64 Depth=1
	s_or_b64 exec, exec, s[2:3]
	v_and_b32_e32 v1, 0xffff0000, v1
	v_mul_f32_e32 v1, v16, v1
	v_rndne_f32_e32 v1, v1
	v_cmp_nle_f32_e32 vcc, s8, v1
	s_and_saveexec_b64 s[2:3], vcc
	s_cbranch_execz .LBB11_104
; %bb.101:                              ;   in Loop: Header=BB11_64 Depth=1
	v_cmp_nge_f32_e32 vcc, s9, v1
	v_bfrev_b32_e32 v22, 1
	s_and_saveexec_b64 s[4:5], vcc
; %bb.102:                              ;   in Loop: Header=BB11_64 Depth=1
	v_cvt_i32_f32_e32 v22, v1
; %bb.103:                              ;   in Loop: Header=BB11_64 Depth=1
	s_or_b64 exec, exec, s[4:5]
.LBB11_104:                             ;   in Loop: Header=BB11_64 Depth=1
	s_or_b64 exec, exec, s[2:3]
	v_lshlrev_b32_e32 v1, 16, v2
	v_mul_f32_e32 v1, v16, v1
	v_rndne_f32_e32 v24, v1
	v_cmp_nle_f32_e32 vcc, s8, v24
	v_bfrev_b32_e32 v23, -2
	v_bfrev_b32_e32 v1, -2
	s_and_saveexec_b64 s[2:3], vcc
	s_cbranch_execz .LBB11_108
; %bb.105:                              ;   in Loop: Header=BB11_64 Depth=1
	v_cmp_nge_f32_e32 vcc, s9, v24
	v_bfrev_b32_e32 v1, 1
	s_and_saveexec_b64 s[4:5], vcc
; %bb.106:                              ;   in Loop: Header=BB11_64 Depth=1
	v_cvt_i32_f32_e32 v1, v24
; %bb.107:                              ;   in Loop: Header=BB11_64 Depth=1
	s_or_b64 exec, exec, s[4:5]
.LBB11_108:                             ;   in Loop: Header=BB11_64 Depth=1
	s_or_b64 exec, exec, s[2:3]
	v_and_b32_e32 v2, 0xffff0000, v2
	v_mul_f32_e32 v2, v16, v2
	v_rndne_f32_e32 v2, v2
	v_cmp_nle_f32_e32 vcc, s8, v2
	s_and_saveexec_b64 s[2:3], vcc
	s_cbranch_execz .LBB11_112
; %bb.109:                              ;   in Loop: Header=BB11_64 Depth=1
	v_cmp_nge_f32_e32 vcc, s9, v2
	v_bfrev_b32_e32 v23, 1
	s_and_saveexec_b64 s[4:5], vcc
; %bb.110:                              ;   in Loop: Header=BB11_64 Depth=1
	v_cvt_i32_f32_e32 v23, v2
; %bb.111:                              ;   in Loop: Header=BB11_64 Depth=1
	s_or_b64 exec, exec, s[4:5]
.LBB11_112:                             ;   in Loop: Header=BB11_64 Depth=1
	s_or_b64 exec, exec, s[2:3]
	v_lshlrev_b32_e32 v2, 16, v3
	v_mul_f32_e32 v2, v16, v2
	v_rndne_f32_e32 v25, v2
	v_cmp_nle_f32_e32 vcc, s8, v25
	v_bfrev_b32_e32 v24, -2
	v_bfrev_b32_e32 v2, -2
	s_and_saveexec_b64 s[2:3], vcc
	s_cbranch_execz .LBB11_116
; %bb.113:                              ;   in Loop: Header=BB11_64 Depth=1
	v_cmp_nge_f32_e32 vcc, s9, v25
	v_bfrev_b32_e32 v2, 1
	s_and_saveexec_b64 s[4:5], vcc
; %bb.114:                              ;   in Loop: Header=BB11_64 Depth=1
	v_cvt_i32_f32_e32 v2, v25
; %bb.115:                              ;   in Loop: Header=BB11_64 Depth=1
	s_or_b64 exec, exec, s[4:5]
.LBB11_116:                             ;   in Loop: Header=BB11_64 Depth=1
	;; [unrolled: 34-line block ×3, first 2 shown]
	s_or_b64 exec, exec, s[2:3]
	v_and_b32_e32 v4, 0xffff0000, v4
	v_mul_f32_e32 v4, v16, v4
	v_rndne_f32_e32 v4, v4
	v_cmp_nle_f32_e32 vcc, s8, v4
	s_and_saveexec_b64 s[2:3], vcc
	s_cbranch_execz .LBB11_63
; %bb.125:                              ;   in Loop: Header=BB11_64 Depth=1
	v_cmp_nge_f32_e32 vcc, s9, v4
	v_bfrev_b32_e32 v3, 1
	s_and_saveexec_b64 s[4:5], vcc
	s_cbranch_execz .LBB11_62
; %bb.126:                              ;   in Loop: Header=BB11_64 Depth=1
	v_cvt_i32_f32_e32 v3, v4
	s_branch .LBB11_62
.LBB11_127:
	s_or_b64 exec, exec, s[78:79]
	v_lshl_add_u32 v1, s92, 4, v0
	v_cmp_gt_i32_e32 vcc, s87, v1
	s_and_saveexec_b64 s[0:1], vcc
	s_cbranch_execz .LBB11_139
; %bb.128:
	v_add_u32_e32 v2, 1, v1
	v_max_i32_e32 v2, s87, v2
	s_and_b32 s2, s33, 0xffff
	v_sub_u32_e32 v4, v2, v1
	s_cmp_eq_u32 s2, 1
	v_cmp_lt_u32_e32 vcc, 1, v4
	s_cselect_b64 s[2:3], -1, 0
	s_and_b64 s[6:7], vcc, s[2:3]
	s_mov_b64 s[4:5], -1
	s_and_saveexec_b64 s[2:3], s[6:7]
	s_cbranch_execz .LBB11_132
; %bb.129:
	v_and_b32_e32 v5, -2, v4
	s_mov_b64 s[4:5], 0
	v_mov_b32_e32 v6, s91
	v_mov_b32_e32 v7, s11
	s_mov_b32 s6, 0x4f000000
	s_mov_b32 s7, 0xcf000000
	v_mov_b32_e32 v8, 0xcf000000
	v_bfrev_b32_e32 v10, -2
	s_movk_i32 s8, 0xff80
	v_mov_b32_e32 v11, 0x7f
	v_mov_b32_e32 v2, v1
	;; [unrolled: 1-line block ×3, first 2 shown]
.LBB11_130:                             ; =>This Inner Loop Header: Depth=1
	v_ashrrev_i32_e32 v3, 31, v2
	v_lshlrev_b64 v[13:14], 1, v[2:3]
	v_add_u32_e32 v12, -2, v12
	v_add_co_u32_e32 v13, vcc, s88, v13
	v_addc_co_u32_e32 v14, vcc, v7, v14, vcc
	global_load_dword v15, v[13:14], off
	v_add_co_u32_e32 v13, vcc, s89, v2
	v_addc_co_u32_e32 v14, vcc, v6, v3, vcc
	v_cmp_eq_u32_e32 vcc, 0, v12
	s_or_b64 s[4:5], vcc, s[4:5]
	v_add_u32_e32 v2, 2, v2
	s_waitcnt vmcnt(0)
	v_lshlrev_b32_e32 v3, 16, v15
	v_and_b32_e32 v15, 0xffff0000, v15
	v_mul_f32_e32 v3, v16, v3
	v_mul_f32_e32 v15, v16, v15
	v_rndne_f32_e32 v3, v3
	v_rndne_f32_e32 v15, v15
	v_cmp_nge_f32_e32 vcc, s7, v3
	v_cndmask_b32_e32 v17, v8, v3, vcc
	v_cmp_nge_f32_e32 vcc, s7, v15
	v_cvt_i32_f32_e32 v17, v17
	v_cndmask_b32_e32 v18, v8, v15, vcc
	v_cvt_i32_f32_e32 v18, v18
	v_cmp_nle_f32_e32 vcc, s6, v3
	v_cndmask_b32_e32 v3, v10, v17, vcc
	v_cmp_nle_f32_e32 vcc, s6, v15
	v_cndmask_b32_e32 v15, v10, v18, vcc
	v_add_u32_e32 v15, v15, v9
	v_add_u32_e32 v3, v3, v9
	v_med3_i32 v15, v15, s8, v11
	v_med3_i32 v3, v3, s8, v11
	v_lshlrev_b16_e32 v15, 8, v15
	v_or_b32_sdwa v3, v3, v15 dst_sel:DWORD dst_unused:UNUSED_PAD src0_sel:BYTE_0 src1_sel:DWORD
	global_store_short v[13:14], v3, off
	s_andn2_b64 exec, exec, s[4:5]
	s_cbranch_execnz .LBB11_130
; %bb.131:
	s_or_b64 exec, exec, s[4:5]
	v_cmp_ne_u32_e32 vcc, v4, v5
	v_add_u32_e32 v1, v1, v5
	s_orn2_b64 s[4:5], vcc, exec
.LBB11_132:
	s_or_b64 exec, exec, s[2:3]
	s_and_b64 exec, exec, s[4:5]
	s_cbranch_execz .LBB11_139
; %bb.133:
	s_add_u32 s2, s66, s76
	s_addc_u32 s3, s67, s77
	v_ashrrev_i32_e32 v2, 31, v1
	v_lshlrev_b64 v[3:4], 1, v[1:2]
	s_add_u32 s2, s64, s2
	s_addc_u32 s3, s65, s3
	s_lshl_b32 s10, s33, 1
	v_add_co_u32_e32 v3, vcc, s2, v3
	s_add_u32 s2, s74, s68
	v_mov_b32_e32 v5, s3
	s_addc_u32 s3, s75, s69
	s_add_u32 s2, s70, s2
	v_addc_co_u32_e32 v4, vcc, v5, v4, vcc
	s_addc_u32 s3, s71, s3
	v_mov_b32_e32 v6, s3
	v_add_co_u32_e32 v5, vcc, s2, v1
	v_addc_co_u32_e32 v2, vcc, v6, v2, vcc
	s_mov_b64 s[2:3], 0
	s_mov_b32 s11, 0x4f000000
	s_mov_b32 s12, 0xcf000000
	s_movk_i32 s13, 0xff80
	v_mov_b32_e32 v6, 0x7f
	s_mov_b64 s[4:5], 0
	s_branch .LBB11_136
.LBB11_134:                             ;   in Loop: Header=BB11_136 Depth=1
	s_or_b64 exec, exec, s[8:9]
.LBB11_135:                             ;   in Loop: Header=BB11_136 Depth=1
	s_or_b64 exec, exec, s[6:7]
	v_mov_b32_e32 v8, s5
	v_add_co_u32_e32 v10, vcc, s4, v5
	v_add_u32_e32 v7, v7, v9
	v_addc_co_u32_e32 v11, vcc, v2, v8, vcc
	v_med3_i32 v7, v7, s13, v6
	s_add_u32 s4, s4, s33
	global_store_byte v[10:11], v7, off
	v_add_u32_e32 v7, s4, v1
	s_addc_u32 s5, s5, 0
	v_cmp_le_i32_e32 vcc, s87, v7
	s_or_b64 s[2:3], vcc, s[2:3]
	v_add_co_u32_e32 v3, vcc, s10, v3
	v_addc_co_u32_e32 v4, vcc, 0, v4, vcc
	s_andn2_b64 exec, exec, s[2:3]
	s_cbranch_execz .LBB11_139
.LBB11_136:                             ; =>This Inner Loop Header: Depth=1
	global_load_ushort v7, v[3:4], off
	s_waitcnt vmcnt(0)
	v_lshlrev_b32_e32 v7, 16, v7
	v_mul_f32_e32 v7, v16, v7
	v_rndne_f32_e32 v8, v7
	v_cmp_nle_f32_e32 vcc, s11, v8
	v_bfrev_b32_e32 v7, -2
	s_and_saveexec_b64 s[6:7], vcc
	s_cbranch_execz .LBB11_135
; %bb.137:                              ;   in Loop: Header=BB11_136 Depth=1
	v_cmp_nge_f32_e32 vcc, s12, v8
	v_bfrev_b32_e32 v7, 1
	s_and_saveexec_b64 s[8:9], vcc
	s_cbranch_execz .LBB11_134
; %bb.138:                              ;   in Loop: Header=BB11_136 Depth=1
	v_cvt_i32_f32_e32 v7, v8
	s_branch .LBB11_134
.LBB11_139:
	s_or_b64 exec, exec, s[0:1]
	s_mov_b64 s[2:3], 0
.LBB11_140:
	s_and_b64 vcc, exec, s[2:3]
	s_cbranch_vccz .LBB11_213
; %bb.141:
	s_ashr_i32 s78, s86, 4
	v_cmp_gt_i32_e32 vcc, s78, v0
	s_and_saveexec_b64 s[0:1], vcc
	s_cbranch_execz .LBB11_213
; %bb.142:
	v_add_u32_e32 v1, 1, v0
	v_max_i32_e32 v2, s78, v1
	s_and_b32 s0, s33, 0xffff
	v_sub_u32_e32 v10, v2, v0
	s_cmp_eq_u32 s0, 1
	v_cmp_lt_u32_e32 vcc, 1, v10
	s_cselect_b64 s[0:1], -1, 0
	s_and_b64 s[2:3], vcc, s[0:1]
	s_mov_b64 s[0:1], -1
	s_and_saveexec_b64 s[74:75], s[2:3]
	s_cbranch_execz .LBB11_146
; %bb.143:
	v_and_b32_e32 v11, -2, v10
	v_mov_b32_e32 v4, v1
	s_mov_b64 s[76:77], 0
	v_mov_b32_e32 v2, 0
	v_mov_b32_e32 v12, s85
	s_mov_b32 s79, 0x4f000000
	s_mov_b32 s80, 0xcf000000
	v_mov_b32_e32 v13, 0xcf000000
	v_bfrev_b32_e32 v14, -2
	s_movk_i32 s81, 0xff80
	v_mov_b32_e32 v15, 0x7f
	v_mov_b32_e32 v17, s73
	s_mov_b32 s73, 0xc0c0004
	v_mov_b32_e32 v18, v11
	v_mov_b32_e32 v3, v0
.LBB11_144:                             ; =>This Inner Loop Header: Depth=1
	v_mov_b32_e32 v1, v3
	v_add_u32_e32 v18, -2, v18
	v_lshlrev_b64 v[7:8], 5, v[1:2]
	v_cmp_eq_u32_e32 vcc, 0, v18
	v_lshlrev_b64 v[19:20], 4, v[1:2]
	s_or_b64 s[76:77], vcc, s[76:77]
	v_add_co_u32_e32 v27, vcc, s84, v7
	v_mov_b32_e32 v5, v4
	v_mov_b32_e32 v6, v2
	v_addc_co_u32_e32 v28, vcc, v12, v8, vcc
	v_lshlrev_b64 v[21:22], 5, v[5:6]
	v_lshlrev_b64 v[23:24], 4, v[5:6]
	v_add_co_u32_e32 v5, vcc, s72, v19
	v_addc_co_u32_e32 v6, vcc, v17, v20, vcc
	v_add_co_u32_e32 v31, vcc, s84, v21
	v_addc_co_u32_e32 v32, vcc, v12, v22, vcc
	;; [unrolled: 2-line block ×3, first 2 shown]
	global_load_dwordx4 v[19:22], v[27:28], off
	global_load_dwordx4 v[23:26], v[27:28], off offset:16
                                        ; kill: killed $vgpr27 killed $vgpr28
	s_nop 0
	global_load_dwordx4 v[27:30], v[31:32], off
	s_nop 0
	global_load_dwordx4 v[31:34], v[31:32], off offset:16
	v_add_u32_e32 v4, 2, v4
	v_add_u32_e32 v3, 2, v3
	s_waitcnt vmcnt(3)
	v_lshlrev_b32_e32 v1, 16, v19
	v_and_b32_e32 v19, 0xffff0000, v19
	v_lshlrev_b32_e32 v35, 16, v20
	v_mul_f32_e32 v19, v16, v19
	v_and_b32_e32 v20, 0xffff0000, v20
	s_waitcnt vmcnt(0)
	v_lshlrev_b32_e32 v48, 16, v33
	v_mul_f32_e32 v35, v16, v35
	v_rndne_f32_e32 v50, v19
	v_lshlrev_b32_e32 v36, 16, v21
	v_mul_f32_e32 v20, v16, v20
	v_mul_f32_e32 v48, v16, v48
	v_rndne_f32_e32 v35, v35
	v_cmp_nge_f32_e32 vcc, s80, v50
	v_and_b32_e32 v21, 0xffff0000, v21
	v_mul_f32_e32 v36, v16, v36
	v_rndne_f32_e32 v20, v20
	v_rndne_f32_e32 v19, v48
	v_cndmask_b32_e32 v48, v13, v50, vcc
	v_cmp_nge_f32_e32 vcc, s80, v35
	v_lshlrev_b32_e32 v37, 16, v22
	v_mul_f32_e32 v21, v16, v21
	v_rndne_f32_e32 v36, v36
	v_cndmask_b32_e32 v51, v13, v35, vcc
	v_cmp_nge_f32_e32 vcc, s80, v20
	v_and_b32_e32 v22, 0xffff0000, v22
	v_mul_f32_e32 v37, v16, v37
	v_rndne_f32_e32 v21, v21
	v_cndmask_b32_e32 v52, v13, v20, vcc
	v_cmp_nge_f32_e32 vcc, s80, v36
	v_mul_f32_e32 v22, v16, v22
	v_rndne_f32_e32 v37, v37
	v_cndmask_b32_e32 v53, v13, v36, vcc
	v_cmp_nge_f32_e32 vcc, s80, v21
	v_lshlrev_b32_e32 v38, 16, v23
	v_and_b32_e32 v23, 0xffff0000, v23
	v_mul_f32_e32 v1, v16, v1
	v_rndne_f32_e32 v22, v22
	v_cndmask_b32_e32 v54, v13, v21, vcc
	v_cmp_nge_f32_e32 vcc, s80, v37
	v_lshlrev_b32_e32 v39, 16, v24
	v_mul_f32_e32 v23, v16, v23
	v_rndne_f32_e32 v1, v1
	v_cndmask_b32_e32 v55, v13, v37, vcc
	v_cmp_nge_f32_e32 vcc, s80, v22
	v_and_b32_e32 v24, 0xffff0000, v24
	v_lshlrev_b32_e32 v40, 16, v25
	v_and_b32_e32 v25, 0xffff0000, v25
	v_lshlrev_b32_e32 v41, 16, v26
	v_mul_f32_e32 v39, v16, v39
	v_rndne_f32_e32 v23, v23
	v_cndmask_b32_e32 v56, v13, v22, vcc
	v_cmp_nge_f32_e32 vcc, s80, v1
	v_and_b32_e32 v26, 0xffff0000, v26
	v_mul_f32_e32 v24, v16, v24
	v_mul_f32_e32 v38, v16, v38
	;; [unrolled: 1-line block ×4, first 2 shown]
	v_rndne_f32_e32 v39, v39
	v_cndmask_b32_e32 v57, v13, v1, vcc
	v_cmp_nge_f32_e32 vcc, s80, v23
	v_mul_f32_e32 v26, v16, v26
	v_rndne_f32_e32 v24, v24
	v_rndne_f32_e32 v38, v38
	;; [unrolled: 1-line block ×4, first 2 shown]
	v_cndmask_b32_e32 v58, v13, v23, vcc
	v_cmp_nge_f32_e32 vcc, s80, v39
	v_lshlrev_b32_e32 v42, 16, v27
	v_and_b32_e32 v27, 0xffff0000, v27
	v_mul_f32_e32 v40, v16, v40
	v_rndne_f32_e32 v26, v26
	v_cndmask_b32_e32 v59, v13, v39, vcc
	v_cmp_nge_f32_e32 vcc, s80, v24
	v_cmp_nge_f32_e64 s[0:1], s80, v38
	v_cmp_nge_f32_e64 s[2:3], s80, v25
	;; [unrolled: 1-line block ×3, first 2 shown]
	v_lshlrev_b32_e32 v43, 16, v28
	v_mul_f32_e32 v27, v16, v27
	v_rndne_f32_e32 v40, v40
	v_cndmask_b32_e32 v60, v13, v24, vcc
	v_cmp_nle_f32_e32 vcc, s79, v50
	v_cndmask_b32_e64 v50, v13, v38, s[0:1]
	v_cmp_nle_f32_e64 s[0:1], s79, v35
	v_cndmask_b32_e64 v35, v13, v25, s[2:3]
	v_cmp_nle_f32_e64 s[2:3], s79, v20
	v_cndmask_b32_e64 v20, v13, v41, s[4:5]
	v_cmp_nge_f32_e64 s[4:5], s80, v26
	v_and_b32_e32 v28, 0xffff0000, v28
	v_mul_f32_e32 v43, v16, v43
	v_rndne_f32_e32 v27, v27
	v_cmp_nle_f32_e64 s[6:7], s79, v36
	v_cndmask_b32_e64 v36, v13, v26, s[4:5]
	v_cmp_nge_f32_e64 s[4:5], s80, v40
	v_lshlrev_b32_e32 v44, 16, v29
	v_mul_f32_e32 v28, v16, v28
	v_rndne_f32_e32 v43, v43
	v_cmp_nle_f32_e64 s[8:9], s79, v21
	v_cndmask_b32_e64 v21, v13, v40, s[4:5]
	v_cmp_nge_f32_e64 s[4:5], s80, v27
	v_and_b32_e32 v29, 0xffff0000, v29
	v_mul_f32_e32 v44, v16, v44
	v_rndne_f32_e32 v28, v28
	v_cmp_nle_f32_e64 s[10:11], s79, v37
	v_cndmask_b32_e64 v37, v13, v27, s[4:5]
	v_cmp_nge_f32_e64 s[4:5], s80, v43
	v_lshlrev_b32_e32 v45, 16, v30
	v_mul_f32_e32 v29, v16, v29
	v_rndne_f32_e32 v44, v44
	v_cmp_nle_f32_e64 s[12:13], s79, v22
	v_cndmask_b32_e64 v22, v13, v43, s[4:5]
	v_cmp_nge_f32_e64 s[4:5], s80, v28
	v_and_b32_e32 v30, 0xffff0000, v30
	v_mul_f32_e32 v45, v16, v45
	v_rndne_f32_e32 v29, v29
	v_cmp_nle_f32_e64 s[14:15], s79, v23
	v_cndmask_b32_e64 v23, v13, v28, s[4:5]
	v_cmp_nge_f32_e64 s[4:5], s80, v44
	v_mul_f32_e32 v30, v16, v30
	v_rndne_f32_e32 v45, v45
	v_cmp_nle_f32_e64 s[16:17], s79, v39
	v_cndmask_b32_e64 v39, v13, v44, s[4:5]
	v_cmp_nge_f32_e64 s[4:5], s80, v29
	v_lshlrev_b32_e32 v46, 16, v31
	v_and_b32_e32 v31, 0xffff0000, v31
	v_mul_f32_e32 v42, v16, v42
	v_rndne_f32_e32 v30, v30
	v_cmp_nle_f32_e64 s[18:19], s79, v24
	v_cndmask_b32_e64 v24, v13, v29, s[4:5]
	v_cmp_nge_f32_e64 s[4:5], s80, v45
	v_lshlrev_b32_e32 v47, 16, v32
	v_mul_f32_e32 v31, v16, v31
	v_rndne_f32_e32 v42, v42
	v_cmp_nle_f32_e64 s[20:21], s79, v38
	v_cndmask_b32_e64 v38, v13, v45, s[4:5]
	v_cmp_nge_f32_e64 s[4:5], s80, v30
	v_and_b32_e32 v32, 0xffff0000, v32
	v_mul_f32_e32 v47, v16, v47
	v_rndne_f32_e32 v31, v31
	v_cmp_nle_f32_e64 s[22:23], s79, v25
	v_cndmask_b32_e64 v25, v13, v30, s[4:5]
	v_cmp_nge_f32_e64 s[4:5], s80, v42
	v_mul_f32_e32 v32, v16, v32
	v_rndne_f32_e32 v47, v47
	v_cmp_nle_f32_e64 s[24:25], s79, v41
	v_cndmask_b32_e64 v41, v13, v42, s[4:5]
	v_cmp_nge_f32_e64 s[4:5], s80, v31
	v_and_b32_e32 v33, 0xffff0000, v33
	v_mul_f32_e32 v46, v16, v46
	v_rndne_f32_e32 v32, v32
	v_cmp_nle_f32_e64 s[26:27], s79, v26
	v_cndmask_b32_e64 v26, v13, v31, s[4:5]
	v_cmp_nge_f32_e64 s[4:5], s80, v47
	v_lshlrev_b32_e32 v49, 16, v34
	v_mul_f32_e32 v33, v16, v33
	v_rndne_f32_e32 v46, v46
	v_cmp_nle_f32_e64 s[28:29], s79, v40
	v_cndmask_b32_e64 v40, v13, v47, s[4:5]
	v_cmp_nge_f32_e64 s[4:5], s80, v32
	v_and_b32_e32 v34, 0xffff0000, v34
	v_mul_f32_e32 v49, v16, v49
	v_rndne_f32_e32 v33, v33
	v_cmp_nle_f32_e64 s[30:31], s79, v27
	v_cndmask_b32_e64 v27, v13, v32, s[4:5]
	v_cmp_nge_f32_e64 s[4:5], s80, v46
	v_mul_f32_e32 v34, v16, v34
	v_rndne_f32_e32 v49, v49
	v_cmp_nle_f32_e64 s[34:35], s79, v43
	v_cndmask_b32_e64 v43, v13, v46, s[4:5]
	v_cmp_nge_f32_e64 s[4:5], s80, v33
	v_rndne_f32_e32 v34, v34
	v_cmp_nle_f32_e64 s[36:37], s79, v28
	v_cndmask_b32_e64 v28, v13, v33, s[4:5]
	v_cmp_nge_f32_e64 s[4:5], s80, v49
	v_cmp_nle_f32_e64 s[38:39], s79, v44
	v_cndmask_b32_e64 v44, v13, v49, s[4:5]
	v_cmp_nge_f32_e64 s[4:5], s80, v34
	v_cmp_nle_f32_e64 s[40:41], s79, v29
	v_cndmask_b32_e64 v29, v13, v34, s[4:5]
	v_cmp_nge_f32_e64 s[4:5], s80, v19
	v_cvt_i32_f32_e32 v48, v48
	v_cvt_i32_f32_e32 v51, v51
	;; [unrolled: 1-line block ×3, first 2 shown]
	v_cmp_nle_f32_e64 s[42:43], s79, v45
	v_cndmask_b32_e64 v45, v13, v19, s[4:5]
	v_cvt_i32_f32_e32 v57, v57
	v_cvt_i32_f32_e32 v29, v29
	;; [unrolled: 1-line block ×21, first 2 shown]
	v_cmp_nle_f32_e64 s[4:5], s79, v30
	v_cvt_i32_f32_e32 v30, v41
	v_cvt_i32_f32_e32 v26, v26
	v_cmp_nle_f32_e64 s[46:47], s79, v31
	v_cvt_i32_f32_e32 v31, v40
	v_cvt_i32_f32_e32 v27, v27
	;; [unrolled: 3-line block ×3, first 2 shown]
	v_cmp_nle_f32_e64 s[54:55], s79, v33
	v_cvt_i32_f32_e32 v33, v44
	v_cmp_nle_f32_e64 s[58:59], s79, v34
	v_cvt_i32_f32_e32 v34, v45
	v_cmp_nle_f32_e64 s[62:63], s79, v1
	v_cmp_nle_f32_e64 s[44:45], s79, v42
	;; [unrolled: 1-line block ×6, first 2 shown]
	v_cndmask_b32_e64 v1, v14, v57, s[62:63]
	v_cndmask_b32_e32 v19, v14, v48, vcc
	v_cndmask_b32_e64 v40, v14, v51, s[0:1]
	v_cndmask_b32_e64 v41, v14, v52, s[2:3]
	;; [unrolled: 1-line block ×30, first 2 shown]
	v_add_u32_e32 v1, v1, v9
	v_add_u32_e32 v19, v19, v9
	;; [unrolled: 1-line block ×32, first 2 shown]
	v_med3_i32 v1, v1, s81, v15
	v_med3_i32 v19, v19, s81, v15
	;; [unrolled: 1-line block ×32, first 2 shown]
	v_perm_b32 v1, v1, v19, s73
	v_perm_b32 v19, v40, v41, s73
	v_lshlrev_b16_e32 v29, 8, v29
	v_perm_b32 v40, v42, v43, s73
	v_perm_b32 v41, v44, v45, s73
	;; [unrolled: 1-line block ×13, first 2 shown]
	v_lshl_or_b32 v19, v19, 16, v1
	v_or_b32_sdwa v1, v33, v29 dst_sel:WORD_1 dst_unused:UNUSED_PAD src0_sel:BYTE_0 src1_sel:DWORD
	v_lshl_or_b32 v20, v41, 16, v40
	v_lshl_or_b32 v21, v43, 16, v42
	;; [unrolled: 1-line block ×6, first 2 shown]
	v_or_b32_e32 v26, v28, v1
	global_store_dwordx4 v[5:6], v[19:22], off
	global_store_dwordx4 v[7:8], v[23:26], off
	s_andn2_b64 exec, exec, s[76:77]
	s_cbranch_execnz .LBB11_144
; %bb.145:
	s_or_b64 exec, exec, s[76:77]
	v_cmp_ne_u32_e32 vcc, v10, v11
	v_add_u32_e32 v0, v0, v11
	s_orn2_b64 s[0:1], vcc, exec
.LBB11_146:
	s_or_b64 exec, exec, s[74:75]
	s_and_b64 exec, exec, s[0:1]
	s_cbranch_execz .LBB11_213
; %bb.147:
	v_mov_b32_e32 v1, 0
	v_lshlrev_b64 v[2:3], 4, v[0:1]
	s_add_u32 s0, s70, s68
	s_addc_u32 s1, s71, s69
	v_mov_b32_e32 v4, s1
	v_add_co_u32_e32 v2, vcc, s0, v2
	v_addc_co_u32_e32 v3, vcc, v4, v3, vcc
	s_lshl_b32 s6, s33, 4
	v_add_co_u32_e32 v10, vcc, 7, v2
	v_lshlrev_b64 v[1:2], 5, v[0:1]
	s_add_u32 s0, s64, s66
	v_addc_co_u32_e32 v11, vcc, 0, v3, vcc
	s_addc_u32 s1, s65, s67
	v_mov_b32_e32 v3, s1
	v_add_co_u32_e32 v12, vcc, s0, v1
	v_addc_co_u32_e32 v13, vcc, v3, v2, vcc
	s_lshl_b32 s7, s33, 5
	s_mov_b64 s[0:1], 0
	s_mov_b32 s8, 0x4f000000
	s_mov_b32 s9, 0xcf000000
	s_movk_i32 s10, 0xff80
	v_mov_b32_e32 v14, 0x7f
	s_branch .LBB11_150
.LBB11_148:                             ;   in Loop: Header=BB11_150 Depth=1
	s_or_b64 exec, exec, s[4:5]
.LBB11_149:                             ;   in Loop: Header=BB11_150 Depth=1
	s_or_b64 exec, exec, s[2:3]
	v_add_u32_e32 v23, v23, v9
	v_add_u32_e32 v3, v3, v9
	v_add_u32_e32 v4, v24, v9
	v_med3_i32 v23, v23, s10, v14
	v_add_u32_e32 v2, v2, v9
	v_med3_i32 v3, v3, s10, v14
	v_med3_i32 v4, v4, s10, v14
	;; [unrolled: 1-line block ×3, first 2 shown]
	v_add_u32_e32 v22, v22, v9
	v_add_u32_e32 v21, v21, v9
	v_lshlrev_b16_e32 v23, 8, v23
	v_lshlrev_b16_e32 v3, 8, v3
	v_med3_i32 v22, v22, s10, v14
	v_add_u32_e32 v1, v1, v9
	v_med3_i32 v21, v21, s10, v14
	v_add_u32_e32 v8, v8, v9
	v_or_b32_sdwa v2, v2, v23 dst_sel:DWORD dst_unused:UNUSED_PAD src0_sel:BYTE_0 src1_sel:DWORD
	v_or_b32_sdwa v3, v4, v3 dst_sel:WORD_1 dst_unused:UNUSED_PAD src0_sel:BYTE_0 src1_sel:DWORD
	v_med3_i32 v1, v1, s10, v14
	v_med3_i32 v8, v8, s10, v14
	v_add_u32_e32 v20, v20, v9
	v_add_u32_e32 v19, v19, v9
	v_or_b32_sdwa v4, v2, v3 dst_sel:DWORD dst_unused:UNUSED_PAD src0_sel:WORD_0 src1_sel:DWORD
	v_lshlrev_b16_e32 v2, 8, v21
	v_lshlrev_b16_e32 v3, 8, v22
	v_med3_i32 v20, v20, s10, v14
	v_add_u32_e32 v7, v7, v9
	v_med3_i32 v19, v19, s10, v14
	v_add_u32_e32 v6, v6, v9
	v_or_b32_sdwa v2, v8, v2 dst_sel:DWORD dst_unused:UNUSED_PAD src0_sel:BYTE_0 src1_sel:DWORD
	v_or_b32_sdwa v1, v1, v3 dst_sel:WORD_1 dst_unused:UNUSED_PAD src0_sel:BYTE_0 src1_sel:DWORD
	v_med3_i32 v7, v7, s10, v14
	v_med3_i32 v6, v6, s10, v14
	v_add_u32_e32 v18, v18, v9
	v_add_u32_e32 v15, v15, v9
	v_or_b32_sdwa v3, v2, v1 dst_sel:DWORD dst_unused:UNUSED_PAD src0_sel:WORD_0 src1_sel:DWORD
	v_lshlrev_b16_e32 v1, 8, v19
	v_lshlrev_b16_e32 v2, 8, v20
	v_med3_i32 v18, v18, s10, v14
	v_add_u32_e32 v5, v5, v9
	v_med3_i32 v15, v15, s10, v14
	v_add_u32_e32 v17, v17, v9
	v_or_b32_sdwa v1, v6, v1 dst_sel:DWORD dst_unused:UNUSED_PAD src0_sel:BYTE_0 src1_sel:DWORD
	v_or_b32_sdwa v2, v7, v2 dst_sel:WORD_1 dst_unused:UNUSED_PAD src0_sel:BYTE_0 src1_sel:DWORD
	v_med3_i32 v5, v5, s10, v14
	v_med3_i32 v17, v17, s10, v14
	v_or_b32_sdwa v2, v1, v2 dst_sel:DWORD dst_unused:UNUSED_PAD src0_sel:WORD_0 src1_sel:DWORD
	v_lshlrev_b16_e32 v1, 8, v15
	v_lshlrev_b16_e32 v6, 8, v18
	v_or_b32_sdwa v1, v17, v1 dst_sel:DWORD dst_unused:UNUSED_PAD src0_sel:BYTE_0 src1_sel:DWORD
	v_or_b32_sdwa v5, v5, v6 dst_sel:WORD_1 dst_unused:UNUSED_PAD src0_sel:BYTE_0 src1_sel:DWORD
	v_or_b32_sdwa v1, v1, v5 dst_sel:DWORD dst_unused:UNUSED_PAD src0_sel:WORD_0 src1_sel:DWORD
	global_store_dwordx4 v[10:11], v[1:4], off offset:-7
	v_add_co_u32_e32 v10, vcc, s6, v10
	v_add_u32_e32 v0, s33, v0
	v_addc_co_u32_e32 v11, vcc, 0, v11, vcc
	v_cmp_le_i32_e32 vcc, s78, v0
	s_or_b64 s[0:1], vcc, s[0:1]
	v_add_co_u32_e32 v12, vcc, s7, v12
	v_addc_co_u32_e32 v13, vcc, 0, v13, vcc
	s_andn2_b64 exec, exec, s[0:1]
	s_cbranch_execz .LBB11_213
.LBB11_150:                             ; =>This Inner Loop Header: Depth=1
	global_load_dwordx4 v[5:8], v[12:13], off
	global_load_dwordx4 v[1:4], v[12:13], off offset:16
	v_bfrev_b32_e32 v15, -2
	s_waitcnt vmcnt(1)
	v_lshlrev_b32_e32 v17, 16, v5
	v_mul_f32_e32 v17, v16, v17
	v_rndne_f32_e32 v18, v17
	v_cmp_nle_f32_e32 vcc, s8, v18
	v_bfrev_b32_e32 v17, -2
	s_and_saveexec_b64 s[2:3], vcc
	s_cbranch_execz .LBB11_154
; %bb.151:                              ;   in Loop: Header=BB11_150 Depth=1
	v_cmp_nge_f32_e32 vcc, s9, v18
	v_bfrev_b32_e32 v17, 1
	s_and_saveexec_b64 s[4:5], vcc
; %bb.152:                              ;   in Loop: Header=BB11_150 Depth=1
	v_cvt_i32_f32_e32 v17, v18
; %bb.153:                              ;   in Loop: Header=BB11_150 Depth=1
	s_or_b64 exec, exec, s[4:5]
.LBB11_154:                             ;   in Loop: Header=BB11_150 Depth=1
	s_or_b64 exec, exec, s[2:3]
	v_and_b32_e32 v5, 0xffff0000, v5
	v_mul_f32_e32 v5, v16, v5
	v_rndne_f32_e32 v5, v5
	v_cmp_nle_f32_e32 vcc, s8, v5
	s_and_saveexec_b64 s[2:3], vcc
	s_cbranch_execz .LBB11_158
; %bb.155:                              ;   in Loop: Header=BB11_150 Depth=1
	v_cmp_nge_f32_e32 vcc, s9, v5
	v_bfrev_b32_e32 v15, 1
	s_and_saveexec_b64 s[4:5], vcc
; %bb.156:                              ;   in Loop: Header=BB11_150 Depth=1
	v_cvt_i32_f32_e32 v15, v5
; %bb.157:                              ;   in Loop: Header=BB11_150 Depth=1
	s_or_b64 exec, exec, s[4:5]
.LBB11_158:                             ;   in Loop: Header=BB11_150 Depth=1
	s_or_b64 exec, exec, s[2:3]
	v_lshlrev_b32_e32 v5, 16, v6
	v_mul_f32_e32 v5, v16, v5
	v_rndne_f32_e32 v19, v5
	v_cmp_nle_f32_e32 vcc, s8, v19
	v_bfrev_b32_e32 v18, -2
	v_bfrev_b32_e32 v5, -2
	s_and_saveexec_b64 s[2:3], vcc
	s_cbranch_execz .LBB11_162
; %bb.159:                              ;   in Loop: Header=BB11_150 Depth=1
	v_cmp_nge_f32_e32 vcc, s9, v19
	v_bfrev_b32_e32 v5, 1
	s_and_saveexec_b64 s[4:5], vcc
; %bb.160:                              ;   in Loop: Header=BB11_150 Depth=1
	v_cvt_i32_f32_e32 v5, v19
; %bb.161:                              ;   in Loop: Header=BB11_150 Depth=1
	s_or_b64 exec, exec, s[4:5]
.LBB11_162:                             ;   in Loop: Header=BB11_150 Depth=1
	s_or_b64 exec, exec, s[2:3]
	v_and_b32_e32 v6, 0xffff0000, v6
	v_mul_f32_e32 v6, v16, v6
	v_rndne_f32_e32 v6, v6
	v_cmp_nle_f32_e32 vcc, s8, v6
	s_and_saveexec_b64 s[2:3], vcc
	s_cbranch_execz .LBB11_166
; %bb.163:                              ;   in Loop: Header=BB11_150 Depth=1
	v_cmp_nge_f32_e32 vcc, s9, v6
	v_bfrev_b32_e32 v18, 1
	s_and_saveexec_b64 s[4:5], vcc
; %bb.164:                              ;   in Loop: Header=BB11_150 Depth=1
	v_cvt_i32_f32_e32 v18, v6
; %bb.165:                              ;   in Loop: Header=BB11_150 Depth=1
	s_or_b64 exec, exec, s[4:5]
.LBB11_166:                             ;   in Loop: Header=BB11_150 Depth=1
	s_or_b64 exec, exec, s[2:3]
	v_lshlrev_b32_e32 v6, 16, v7
	v_mul_f32_e32 v6, v16, v6
	v_rndne_f32_e32 v20, v6
	v_cmp_nle_f32_e32 vcc, s8, v20
	v_bfrev_b32_e32 v19, -2
	;; [unrolled: 34-line block ×3, first 2 shown]
	v_bfrev_b32_e32 v7, -2
	s_and_saveexec_b64 s[2:3], vcc
	s_cbranch_execz .LBB11_178
; %bb.175:                              ;   in Loop: Header=BB11_150 Depth=1
	v_cmp_nge_f32_e32 vcc, s9, v21
	v_bfrev_b32_e32 v7, 1
	s_and_saveexec_b64 s[4:5], vcc
; %bb.176:                              ;   in Loop: Header=BB11_150 Depth=1
	v_cvt_i32_f32_e32 v7, v21
; %bb.177:                              ;   in Loop: Header=BB11_150 Depth=1
	s_or_b64 exec, exec, s[4:5]
.LBB11_178:                             ;   in Loop: Header=BB11_150 Depth=1
	s_or_b64 exec, exec, s[2:3]
	v_and_b32_e32 v8, 0xffff0000, v8
	v_mul_f32_e32 v8, v16, v8
	v_rndne_f32_e32 v8, v8
	v_cmp_nle_f32_e32 vcc, s8, v8
	s_and_saveexec_b64 s[2:3], vcc
	s_cbranch_execz .LBB11_182
; %bb.179:                              ;   in Loop: Header=BB11_150 Depth=1
	v_cmp_nge_f32_e32 vcc, s9, v8
	v_bfrev_b32_e32 v20, 1
	s_and_saveexec_b64 s[4:5], vcc
; %bb.180:                              ;   in Loop: Header=BB11_150 Depth=1
	v_cvt_i32_f32_e32 v20, v8
; %bb.181:                              ;   in Loop: Header=BB11_150 Depth=1
	s_or_b64 exec, exec, s[4:5]
.LBB11_182:                             ;   in Loop: Header=BB11_150 Depth=1
	s_or_b64 exec, exec, s[2:3]
	s_waitcnt vmcnt(0)
	v_lshlrev_b32_e32 v8, 16, v1
	v_mul_f32_e32 v8, v16, v8
	v_rndne_f32_e32 v22, v8
	v_cmp_nle_f32_e32 vcc, s8, v22
	v_bfrev_b32_e32 v21, -2
	v_bfrev_b32_e32 v8, -2
	s_and_saveexec_b64 s[2:3], vcc
	s_cbranch_execz .LBB11_186
; %bb.183:                              ;   in Loop: Header=BB11_150 Depth=1
	v_cmp_nge_f32_e32 vcc, s9, v22
	v_bfrev_b32_e32 v8, 1
	s_and_saveexec_b64 s[4:5], vcc
; %bb.184:                              ;   in Loop: Header=BB11_150 Depth=1
	v_cvt_i32_f32_e32 v8, v22
; %bb.185:                              ;   in Loop: Header=BB11_150 Depth=1
	s_or_b64 exec, exec, s[4:5]
.LBB11_186:                             ;   in Loop: Header=BB11_150 Depth=1
	s_or_b64 exec, exec, s[2:3]
	v_and_b32_e32 v1, 0xffff0000, v1
	v_mul_f32_e32 v1, v16, v1
	v_rndne_f32_e32 v1, v1
	v_cmp_nle_f32_e32 vcc, s8, v1
	s_and_saveexec_b64 s[2:3], vcc
	s_cbranch_execz .LBB11_190
; %bb.187:                              ;   in Loop: Header=BB11_150 Depth=1
	v_cmp_nge_f32_e32 vcc, s9, v1
	v_bfrev_b32_e32 v21, 1
	s_and_saveexec_b64 s[4:5], vcc
; %bb.188:                              ;   in Loop: Header=BB11_150 Depth=1
	v_cvt_i32_f32_e32 v21, v1
; %bb.189:                              ;   in Loop: Header=BB11_150 Depth=1
	s_or_b64 exec, exec, s[4:5]
.LBB11_190:                             ;   in Loop: Header=BB11_150 Depth=1
	s_or_b64 exec, exec, s[2:3]
	v_lshlrev_b32_e32 v1, 16, v2
	v_mul_f32_e32 v1, v16, v1
	v_rndne_f32_e32 v23, v1
	v_cmp_nle_f32_e32 vcc, s8, v23
	v_bfrev_b32_e32 v22, -2
	v_bfrev_b32_e32 v1, -2
	s_and_saveexec_b64 s[2:3], vcc
	s_cbranch_execz .LBB11_194
; %bb.191:                              ;   in Loop: Header=BB11_150 Depth=1
	v_cmp_nge_f32_e32 vcc, s9, v23
	v_bfrev_b32_e32 v1, 1
	s_and_saveexec_b64 s[4:5], vcc
; %bb.192:                              ;   in Loop: Header=BB11_150 Depth=1
	v_cvt_i32_f32_e32 v1, v23
; %bb.193:                              ;   in Loop: Header=BB11_150 Depth=1
	s_or_b64 exec, exec, s[4:5]
.LBB11_194:                             ;   in Loop: Header=BB11_150 Depth=1
	s_or_b64 exec, exec, s[2:3]
	v_and_b32_e32 v2, 0xffff0000, v2
	v_mul_f32_e32 v2, v16, v2
	v_rndne_f32_e32 v2, v2
	v_cmp_nle_f32_e32 vcc, s8, v2
	s_and_saveexec_b64 s[2:3], vcc
	s_cbranch_execz .LBB11_198
; %bb.195:                              ;   in Loop: Header=BB11_150 Depth=1
	v_cmp_nge_f32_e32 vcc, s9, v2
	v_bfrev_b32_e32 v22, 1
	s_and_saveexec_b64 s[4:5], vcc
; %bb.196:                              ;   in Loop: Header=BB11_150 Depth=1
	v_cvt_i32_f32_e32 v22, v2
; %bb.197:                              ;   in Loop: Header=BB11_150 Depth=1
	s_or_b64 exec, exec, s[4:5]
.LBB11_198:                             ;   in Loop: Header=BB11_150 Depth=1
	s_or_b64 exec, exec, s[2:3]
	;; [unrolled: 34-line block ×3, first 2 shown]
	v_lshlrev_b32_e32 v3, 16, v4
	v_mul_f32_e32 v3, v16, v3
	v_rndne_f32_e32 v25, v3
	v_cmp_nle_f32_e32 vcc, s8, v25
	v_bfrev_b32_e32 v3, -2
	v_bfrev_b32_e32 v24, -2
	s_and_saveexec_b64 s[2:3], vcc
	s_cbranch_execz .LBB11_210
; %bb.207:                              ;   in Loop: Header=BB11_150 Depth=1
	v_cmp_nge_f32_e32 vcc, s9, v25
	v_bfrev_b32_e32 v24, 1
	s_and_saveexec_b64 s[4:5], vcc
; %bb.208:                              ;   in Loop: Header=BB11_150 Depth=1
	v_cvt_i32_f32_e32 v24, v25
; %bb.209:                              ;   in Loop: Header=BB11_150 Depth=1
	s_or_b64 exec, exec, s[4:5]
.LBB11_210:                             ;   in Loop: Header=BB11_150 Depth=1
	s_or_b64 exec, exec, s[2:3]
	v_and_b32_e32 v4, 0xffff0000, v4
	v_mul_f32_e32 v4, v16, v4
	v_rndne_f32_e32 v4, v4
	v_cmp_nle_f32_e32 vcc, s8, v4
	s_and_saveexec_b64 s[2:3], vcc
	s_cbranch_execz .LBB11_149
; %bb.211:                              ;   in Loop: Header=BB11_150 Depth=1
	v_cmp_nge_f32_e32 vcc, s9, v4
	v_bfrev_b32_e32 v3, 1
	s_and_saveexec_b64 s[4:5], vcc
	s_cbranch_execz .LBB11_148
; %bb.212:                              ;   in Loop: Header=BB11_150 Depth=1
	v_cvt_i32_f32_e32 v3, v4
	s_branch .LBB11_148
.LBB11_213:
	s_endpgm
	.section	.rodata,"a",@progbits
	.p2align	6, 0x0
	.amdhsa_kernel _ZN4vllm36dynamic_scaled_int8_azp_quant_kernelIN3c108BFloat16EfiEEvPKT_PaPT0_PT1_i
		.amdhsa_group_segment_fixed_size 40
		.amdhsa_private_segment_fixed_size 0
		.amdhsa_kernarg_size 296
		.amdhsa_user_sgpr_count 6
		.amdhsa_user_sgpr_private_segment_buffer 1
		.amdhsa_user_sgpr_dispatch_ptr 0
		.amdhsa_user_sgpr_queue_ptr 0
		.amdhsa_user_sgpr_kernarg_segment_ptr 1
		.amdhsa_user_sgpr_dispatch_id 0
		.amdhsa_user_sgpr_flat_scratch_init 0
		.amdhsa_user_sgpr_private_segment_size 0
		.amdhsa_uses_dynamic_stack 0
		.amdhsa_system_sgpr_private_segment_wavefront_offset 0
		.amdhsa_system_sgpr_workgroup_id_x 1
		.amdhsa_system_sgpr_workgroup_id_y 0
		.amdhsa_system_sgpr_workgroup_id_z 0
		.amdhsa_system_sgpr_workgroup_info 0
		.amdhsa_system_vgpr_workitem_id 0
		.amdhsa_next_free_vgpr 62
		.amdhsa_next_free_sgpr 96
		.amdhsa_reserve_vcc 1
		.amdhsa_reserve_flat_scratch 0
		.amdhsa_float_round_mode_32 0
		.amdhsa_float_round_mode_16_64 0
		.amdhsa_float_denorm_mode_32 3
		.amdhsa_float_denorm_mode_16_64 3
		.amdhsa_dx10_clamp 1
		.amdhsa_ieee_mode 1
		.amdhsa_fp16_overflow 0
		.amdhsa_exception_fp_ieee_invalid_op 0
		.amdhsa_exception_fp_denorm_src 0
		.amdhsa_exception_fp_ieee_div_zero 0
		.amdhsa_exception_fp_ieee_overflow 0
		.amdhsa_exception_fp_ieee_underflow 0
		.amdhsa_exception_fp_ieee_inexact 0
		.amdhsa_exception_int_div_zero 0
	.end_amdhsa_kernel
	.section	.text._ZN4vllm36dynamic_scaled_int8_azp_quant_kernelIN3c108BFloat16EfiEEvPKT_PaPT0_PT1_i,"axG",@progbits,_ZN4vllm36dynamic_scaled_int8_azp_quant_kernelIN3c108BFloat16EfiEEvPKT_PaPT0_PT1_i,comdat
.Lfunc_end11:
	.size	_ZN4vllm36dynamic_scaled_int8_azp_quant_kernelIN3c108BFloat16EfiEEvPKT_PaPT0_PT1_i, .Lfunc_end11-_ZN4vllm36dynamic_scaled_int8_azp_quant_kernelIN3c108BFloat16EfiEEvPKT_PaPT0_PT1_i
                                        ; -- End function
	.set _ZN4vllm36dynamic_scaled_int8_azp_quant_kernelIN3c108BFloat16EfiEEvPKT_PaPT0_PT1_i.num_vgpr, 62
	.set _ZN4vllm36dynamic_scaled_int8_azp_quant_kernelIN3c108BFloat16EfiEEvPKT_PaPT0_PT1_i.num_agpr, 0
	.set _ZN4vllm36dynamic_scaled_int8_azp_quant_kernelIN3c108BFloat16EfiEEvPKT_PaPT0_PT1_i.numbered_sgpr, 96
	.set _ZN4vllm36dynamic_scaled_int8_azp_quant_kernelIN3c108BFloat16EfiEEvPKT_PaPT0_PT1_i.num_named_barrier, 0
	.set _ZN4vllm36dynamic_scaled_int8_azp_quant_kernelIN3c108BFloat16EfiEEvPKT_PaPT0_PT1_i.private_seg_size, 0
	.set _ZN4vllm36dynamic_scaled_int8_azp_quant_kernelIN3c108BFloat16EfiEEvPKT_PaPT0_PT1_i.uses_vcc, 1
	.set _ZN4vllm36dynamic_scaled_int8_azp_quant_kernelIN3c108BFloat16EfiEEvPKT_PaPT0_PT1_i.uses_flat_scratch, 0
	.set _ZN4vllm36dynamic_scaled_int8_azp_quant_kernelIN3c108BFloat16EfiEEvPKT_PaPT0_PT1_i.has_dyn_sized_stack, 0
	.set _ZN4vllm36dynamic_scaled_int8_azp_quant_kernelIN3c108BFloat16EfiEEvPKT_PaPT0_PT1_i.has_recursion, 0
	.set _ZN4vllm36dynamic_scaled_int8_azp_quant_kernelIN3c108BFloat16EfiEEvPKT_PaPT0_PT1_i.has_indirect_call, 0
	.section	.AMDGPU.csdata,"",@progbits
; Kernel info:
; codeLenInByte = 11196
; TotalNumSgprs: 100
; NumVgprs: 62
; ScratchSize: 0
; MemoryBound: 0
; FloatMode: 240
; IeeeMode: 1
; LDSByteSize: 40 bytes/workgroup (compile time only)
; SGPRBlocks: 12
; VGPRBlocks: 15
; NumSGPRsForWavesPerEU: 100
; NumVGPRsForWavesPerEU: 62
; Occupancy: 4
; WaveLimiterHint : 0
; COMPUTE_PGM_RSRC2:SCRATCH_EN: 0
; COMPUTE_PGM_RSRC2:USER_SGPR: 6
; COMPUTE_PGM_RSRC2:TRAP_HANDLER: 0
; COMPUTE_PGM_RSRC2:TGID_X_EN: 1
; COMPUTE_PGM_RSRC2:TGID_Y_EN: 0
; COMPUTE_PGM_RSRC2:TGID_Z_EN: 0
; COMPUTE_PGM_RSRC2:TIDIG_COMP_CNT: 0
	.section	.AMDGPU.gpr_maximums,"",@progbits
	.set amdgpu.max_num_vgpr, 0
	.set amdgpu.max_num_agpr, 0
	.set amdgpu.max_num_sgpr, 0
	.section	.AMDGPU.csdata,"",@progbits
	.type	__hip_cuid_7b2d68778d41bc77,@object ; @__hip_cuid_7b2d68778d41bc77
	.section	.bss,"aw",@nobits
	.globl	__hip_cuid_7b2d68778d41bc77
__hip_cuid_7b2d68778d41bc77:
	.byte	0                               ; 0x0
	.size	__hip_cuid_7b2d68778d41bc77, 1

	.ident	"AMD clang version 22.0.0git (https://github.com/RadeonOpenCompute/llvm-project roc-7.2.4 26084 f58b06dce1f9c15707c5f808fd002e18c2accf7e)"
	.section	".note.GNU-stack","",@progbits
	.addrsig
	.addrsig_sym __hip_cuid_7b2d68778d41bc77
	.amdgpu_metadata
---
amdhsa.kernels:
  - .args:
      - .address_space:  global
        .offset:         0
        .size:           8
        .value_kind:     global_buffer
      - .actual_access:  write_only
        .address_space:  global
        .offset:         8
        .size:           8
        .value_kind:     global_buffer
      - .address_space:  global
        .offset:         16
        .size:           8
        .value_kind:     global_buffer
      - .offset:         24
        .size:           4
        .value_kind:     by_value
      - .offset:         32
        .size:           4
        .value_kind:     hidden_block_count_x
      - .offset:         36
        .size:           4
        .value_kind:     hidden_block_count_y
      - .offset:         40
        .size:           4
        .value_kind:     hidden_block_count_z
      - .offset:         44
        .size:           2
        .value_kind:     hidden_group_size_x
      - .offset:         46
        .size:           2
        .value_kind:     hidden_group_size_y
      - .offset:         48
        .size:           2
        .value_kind:     hidden_group_size_z
      - .offset:         50
        .size:           2
        .value_kind:     hidden_remainder_x
      - .offset:         52
        .size:           2
        .value_kind:     hidden_remainder_y
      - .offset:         54
        .size:           2
        .value_kind:     hidden_remainder_z
      - .offset:         72
        .size:           8
        .value_kind:     hidden_global_offset_x
      - .offset:         80
        .size:           8
        .value_kind:     hidden_global_offset_y
      - .offset:         88
        .size:           8
        .value_kind:     hidden_global_offset_z
      - .offset:         96
        .size:           2
        .value_kind:     hidden_grid_dims
    .group_segment_fixed_size: 0
    .kernarg_segment_align: 8
    .kernarg_segment_size: 288
    .language:       OpenCL C
    .language_version:
      - 2
      - 0
    .max_flat_workgroup_size: 1024
    .name:           _ZN4vllm31static_scaled_int8_quant_kernelIffEEvPKT_PaPKT0_i
    .private_segment_fixed_size: 0
    .sgpr_count:     35
    .sgpr_spill_count: 0
    .symbol:         _ZN4vllm31static_scaled_int8_quant_kernelIffEEvPKT_PaPKT0_i.kd
    .uniform_work_group_size: 1
    .uses_dynamic_stack: false
    .vgpr_count:     32
    .vgpr_spill_count: 0
    .wavefront_size: 64
  - .args:
      - .address_space:  global
        .offset:         0
        .size:           8
        .value_kind:     global_buffer
      - .actual_access:  write_only
        .address_space:  global
        .offset:         8
        .size:           8
        .value_kind:     global_buffer
      - .address_space:  global
        .offset:         16
        .size:           8
        .value_kind:     global_buffer
      - .address_space:  global
        .offset:         24
        .size:           8
        .value_kind:     global_buffer
      - .offset:         32
        .size:           4
        .value_kind:     by_value
      - .offset:         40
        .size:           4
        .value_kind:     hidden_block_count_x
      - .offset:         44
        .size:           4
        .value_kind:     hidden_block_count_y
      - .offset:         48
        .size:           4
        .value_kind:     hidden_block_count_z
      - .offset:         52
        .size:           2
        .value_kind:     hidden_group_size_x
      - .offset:         54
        .size:           2
        .value_kind:     hidden_group_size_y
      - .offset:         56
        .size:           2
        .value_kind:     hidden_group_size_z
      - .offset:         58
        .size:           2
        .value_kind:     hidden_remainder_x
      - .offset:         60
        .size:           2
        .value_kind:     hidden_remainder_y
      - .offset:         62
        .size:           2
        .value_kind:     hidden_remainder_z
      - .offset:         80
        .size:           8
        .value_kind:     hidden_global_offset_x
      - .offset:         88
        .size:           8
        .value_kind:     hidden_global_offset_y
      - .offset:         96
        .size:           8
        .value_kind:     hidden_global_offset_z
      - .offset:         104
        .size:           2
        .value_kind:     hidden_grid_dims
    .group_segment_fixed_size: 0
    .kernarg_segment_align: 8
    .kernarg_segment_size: 296
    .language:       OpenCL C
    .language_version:
      - 2
      - 0
    .max_flat_workgroup_size: 1024
    .name:           _ZN4vllm35static_scaled_int8_azp_quant_kernelIffiEEvPKT_PaPKT0_PKT1_i
    .private_segment_fixed_size: 0
    .sgpr_count:     32
    .sgpr_spill_count: 0
    .symbol:         _ZN4vllm35static_scaled_int8_azp_quant_kernelIffiEEvPKT_PaPKT0_PKT1_i.kd
    .uniform_work_group_size: 1
    .uses_dynamic_stack: false
    .vgpr_count:     26
    .vgpr_spill_count: 0
    .wavefront_size: 64
  - .args:
      - .address_space:  global
        .offset:         0
        .size:           8
        .value_kind:     global_buffer
      - .actual_access:  write_only
        .address_space:  global
        .offset:         8
        .size:           8
        .value_kind:     global_buffer
      - .address_space:  global
        .offset:         16
        .size:           8
        .value_kind:     global_buffer
      - .offset:         24
        .size:           4
        .value_kind:     by_value
      - .offset:         32
        .size:           4
        .value_kind:     hidden_block_count_x
      - .offset:         36
        .size:           4
        .value_kind:     hidden_block_count_y
      - .offset:         40
        .size:           4
        .value_kind:     hidden_block_count_z
      - .offset:         44
        .size:           2
        .value_kind:     hidden_group_size_x
      - .offset:         46
        .size:           2
        .value_kind:     hidden_group_size_y
      - .offset:         48
        .size:           2
        .value_kind:     hidden_group_size_z
      - .offset:         50
        .size:           2
        .value_kind:     hidden_remainder_x
      - .offset:         52
        .size:           2
        .value_kind:     hidden_remainder_y
      - .offset:         54
        .size:           2
        .value_kind:     hidden_remainder_z
      - .offset:         72
        .size:           8
        .value_kind:     hidden_global_offset_x
      - .offset:         80
        .size:           8
        .value_kind:     hidden_global_offset_y
      - .offset:         88
        .size:           8
        .value_kind:     hidden_global_offset_z
      - .offset:         96
        .size:           2
        .value_kind:     hidden_grid_dims
    .group_segment_fixed_size: 0
    .kernarg_segment_align: 8
    .kernarg_segment_size: 288
    .language:       OpenCL C
    .language_version:
      - 2
      - 0
    .max_flat_workgroup_size: 1024
    .name:           _ZN4vllm31static_scaled_int8_quant_kernelIN3c104HalfEfEEvPKT_PaPKT0_i
    .private_segment_fixed_size: 0
    .sgpr_count:     34
    .sgpr_spill_count: 0
    .symbol:         _ZN4vllm31static_scaled_int8_quant_kernelIN3c104HalfEfEEvPKT_PaPKT0_i.kd
    .uniform_work_group_size: 1
    .uses_dynamic_stack: false
    .vgpr_count:     29
    .vgpr_spill_count: 0
    .wavefront_size: 64
  - .args:
      - .address_space:  global
        .offset:         0
        .size:           8
        .value_kind:     global_buffer
      - .actual_access:  write_only
        .address_space:  global
        .offset:         8
        .size:           8
        .value_kind:     global_buffer
      - .address_space:  global
        .offset:         16
        .size:           8
        .value_kind:     global_buffer
      - .address_space:  global
        .offset:         24
        .size:           8
        .value_kind:     global_buffer
      - .offset:         32
        .size:           4
        .value_kind:     by_value
      - .offset:         40
        .size:           4
        .value_kind:     hidden_block_count_x
      - .offset:         44
        .size:           4
        .value_kind:     hidden_block_count_y
      - .offset:         48
        .size:           4
        .value_kind:     hidden_block_count_z
      - .offset:         52
        .size:           2
        .value_kind:     hidden_group_size_x
      - .offset:         54
        .size:           2
        .value_kind:     hidden_group_size_y
      - .offset:         56
        .size:           2
        .value_kind:     hidden_group_size_z
      - .offset:         58
        .size:           2
        .value_kind:     hidden_remainder_x
      - .offset:         60
        .size:           2
        .value_kind:     hidden_remainder_y
      - .offset:         62
        .size:           2
        .value_kind:     hidden_remainder_z
      - .offset:         80
        .size:           8
        .value_kind:     hidden_global_offset_x
      - .offset:         88
        .size:           8
        .value_kind:     hidden_global_offset_y
      - .offset:         96
        .size:           8
        .value_kind:     hidden_global_offset_z
      - .offset:         104
        .size:           2
        .value_kind:     hidden_grid_dims
    .group_segment_fixed_size: 0
    .kernarg_segment_align: 8
    .kernarg_segment_size: 296
    .language:       OpenCL C
    .language_version:
      - 2
      - 0
    .max_flat_workgroup_size: 1024
    .name:           _ZN4vllm35static_scaled_int8_azp_quant_kernelIN3c104HalfEfiEEvPKT_PaPKT0_PKT1_i
    .private_segment_fixed_size: 0
    .sgpr_count:     100
    .sgpr_spill_count: 3
    .symbol:         _ZN4vllm35static_scaled_int8_azp_quant_kernelIN3c104HalfEfiEEvPKT_PaPKT0_PKT1_i.kd
    .uniform_work_group_size: 1
    .uses_dynamic_stack: false
    .vgpr_count:     63
    .vgpr_spill_count: 0
    .wavefront_size: 64
  - .args:
      - .address_space:  global
        .offset:         0
        .size:           8
        .value_kind:     global_buffer
      - .actual_access:  write_only
        .address_space:  global
        .offset:         8
        .size:           8
        .value_kind:     global_buffer
      - .address_space:  global
        .offset:         16
        .size:           8
        .value_kind:     global_buffer
      - .offset:         24
        .size:           4
        .value_kind:     by_value
      - .offset:         32
        .size:           4
        .value_kind:     hidden_block_count_x
      - .offset:         36
        .size:           4
        .value_kind:     hidden_block_count_y
      - .offset:         40
        .size:           4
        .value_kind:     hidden_block_count_z
      - .offset:         44
        .size:           2
        .value_kind:     hidden_group_size_x
      - .offset:         46
        .size:           2
        .value_kind:     hidden_group_size_y
      - .offset:         48
        .size:           2
        .value_kind:     hidden_group_size_z
      - .offset:         50
        .size:           2
        .value_kind:     hidden_remainder_x
      - .offset:         52
        .size:           2
        .value_kind:     hidden_remainder_y
      - .offset:         54
        .size:           2
        .value_kind:     hidden_remainder_z
      - .offset:         72
        .size:           8
        .value_kind:     hidden_global_offset_x
      - .offset:         80
        .size:           8
        .value_kind:     hidden_global_offset_y
      - .offset:         88
        .size:           8
        .value_kind:     hidden_global_offset_z
      - .offset:         96
        .size:           2
        .value_kind:     hidden_grid_dims
    .group_segment_fixed_size: 0
    .kernarg_segment_align: 8
    .kernarg_segment_size: 288
    .language:       OpenCL C
    .language_version:
      - 2
      - 0
    .max_flat_workgroup_size: 1024
    .name:           _ZN4vllm31static_scaled_int8_quant_kernelIN3c108BFloat16EfEEvPKT_PaPKT0_i
    .private_segment_fixed_size: 0
    .sgpr_count:     34
    .sgpr_spill_count: 0
    .symbol:         _ZN4vllm31static_scaled_int8_quant_kernelIN3c108BFloat16EfEEvPKT_PaPKT0_i.kd
    .uniform_work_group_size: 1
    .uses_dynamic_stack: false
    .vgpr_count:     29
    .vgpr_spill_count: 0
    .wavefront_size: 64
  - .args:
      - .address_space:  global
        .offset:         0
        .size:           8
        .value_kind:     global_buffer
      - .actual_access:  write_only
        .address_space:  global
        .offset:         8
        .size:           8
        .value_kind:     global_buffer
      - .address_space:  global
        .offset:         16
        .size:           8
        .value_kind:     global_buffer
      - .address_space:  global
        .offset:         24
        .size:           8
        .value_kind:     global_buffer
      - .offset:         32
        .size:           4
        .value_kind:     by_value
      - .offset:         40
        .size:           4
        .value_kind:     hidden_block_count_x
      - .offset:         44
        .size:           4
        .value_kind:     hidden_block_count_y
      - .offset:         48
        .size:           4
        .value_kind:     hidden_block_count_z
      - .offset:         52
        .size:           2
        .value_kind:     hidden_group_size_x
      - .offset:         54
        .size:           2
        .value_kind:     hidden_group_size_y
      - .offset:         56
        .size:           2
        .value_kind:     hidden_group_size_z
      - .offset:         58
        .size:           2
        .value_kind:     hidden_remainder_x
      - .offset:         60
        .size:           2
        .value_kind:     hidden_remainder_y
      - .offset:         62
        .size:           2
        .value_kind:     hidden_remainder_z
      - .offset:         80
        .size:           8
        .value_kind:     hidden_global_offset_x
      - .offset:         88
        .size:           8
        .value_kind:     hidden_global_offset_y
      - .offset:         96
        .size:           8
        .value_kind:     hidden_global_offset_z
      - .offset:         104
        .size:           2
        .value_kind:     hidden_grid_dims
    .group_segment_fixed_size: 0
    .kernarg_segment_align: 8
    .kernarg_segment_size: 296
    .language:       OpenCL C
    .language_version:
      - 2
      - 0
    .max_flat_workgroup_size: 1024
    .name:           _ZN4vllm35static_scaled_int8_azp_quant_kernelIN3c108BFloat16EfiEEvPKT_PaPKT0_PKT1_i
    .private_segment_fixed_size: 0
    .sgpr_count:     100
    .sgpr_spill_count: 3
    .symbol:         _ZN4vllm35static_scaled_int8_azp_quant_kernelIN3c108BFloat16EfiEEvPKT_PaPKT0_PKT1_i.kd
    .uniform_work_group_size: 1
    .uses_dynamic_stack: false
    .vgpr_count:     63
    .vgpr_spill_count: 0
    .wavefront_size: 64
  - .args:
      - .address_space:  global
        .offset:         0
        .size:           8
        .value_kind:     global_buffer
      - .actual_access:  write_only
        .address_space:  global
        .offset:         8
        .size:           8
        .value_kind:     global_buffer
      - .address_space:  global
        .offset:         16
        .size:           8
        .value_kind:     global_buffer
      - .offset:         24
        .size:           4
        .value_kind:     by_value
      - .offset:         32
        .size:           4
        .value_kind:     hidden_block_count_x
      - .offset:         36
        .size:           4
        .value_kind:     hidden_block_count_y
      - .offset:         40
        .size:           4
        .value_kind:     hidden_block_count_z
      - .offset:         44
        .size:           2
        .value_kind:     hidden_group_size_x
      - .offset:         46
        .size:           2
        .value_kind:     hidden_group_size_y
      - .offset:         48
        .size:           2
        .value_kind:     hidden_group_size_z
      - .offset:         50
        .size:           2
        .value_kind:     hidden_remainder_x
      - .offset:         52
        .size:           2
        .value_kind:     hidden_remainder_y
      - .offset:         54
        .size:           2
        .value_kind:     hidden_remainder_z
      - .offset:         72
        .size:           8
        .value_kind:     hidden_global_offset_x
      - .offset:         80
        .size:           8
        .value_kind:     hidden_global_offset_y
      - .offset:         88
        .size:           8
        .value_kind:     hidden_global_offset_z
      - .offset:         96
        .size:           2
        .value_kind:     hidden_grid_dims
    .group_segment_fixed_size: 20
    .kernarg_segment_align: 8
    .kernarg_segment_size: 288
    .language:       OpenCL C
    .language_version:
      - 2
      - 0
    .max_flat_workgroup_size: 1024
    .name:           _ZN4vllm32dynamic_scaled_int8_quant_kernelIffEEvPKT_PaPT0_i
    .private_segment_fixed_size: 0
    .sgpr_count:     59
    .sgpr_spill_count: 0
    .symbol:         _ZN4vllm32dynamic_scaled_int8_quant_kernelIffEEvPKT_PaPT0_i.kd
    .uniform_work_group_size: 1
    .uses_dynamic_stack: false
    .vgpr_count:     26
    .vgpr_spill_count: 0
    .wavefront_size: 64
  - .args:
      - .address_space:  global
        .offset:         0
        .size:           8
        .value_kind:     global_buffer
      - .actual_access:  write_only
        .address_space:  global
        .offset:         8
        .size:           8
        .value_kind:     global_buffer
      - .address_space:  global
        .offset:         16
        .size:           8
        .value_kind:     global_buffer
      - .address_space:  global
        .offset:         24
        .size:           8
        .value_kind:     global_buffer
      - .offset:         32
        .size:           4
        .value_kind:     by_value
      - .offset:         40
        .size:           4
        .value_kind:     hidden_block_count_x
      - .offset:         44
        .size:           4
        .value_kind:     hidden_block_count_y
      - .offset:         48
        .size:           4
        .value_kind:     hidden_block_count_z
      - .offset:         52
        .size:           2
        .value_kind:     hidden_group_size_x
      - .offset:         54
        .size:           2
        .value_kind:     hidden_group_size_y
      - .offset:         56
        .size:           2
        .value_kind:     hidden_group_size_z
      - .offset:         58
        .size:           2
        .value_kind:     hidden_remainder_x
      - .offset:         60
        .size:           2
        .value_kind:     hidden_remainder_y
      - .offset:         62
        .size:           2
        .value_kind:     hidden_remainder_z
      - .offset:         80
        .size:           8
        .value_kind:     hidden_global_offset_x
      - .offset:         88
        .size:           8
        .value_kind:     hidden_global_offset_y
      - .offset:         96
        .size:           8
        .value_kind:     hidden_global_offset_z
      - .offset:         104
        .size:           2
        .value_kind:     hidden_grid_dims
    .group_segment_fixed_size: 40
    .kernarg_segment_align: 8
    .kernarg_segment_size: 296
    .language:       OpenCL C
    .language_version:
      - 2
      - 0
    .max_flat_workgroup_size: 1024
    .name:           _ZN4vllm36dynamic_scaled_int8_azp_quant_kernelIffiEEvPKT_PaPT0_PT1_i
    .private_segment_fixed_size: 0
    .sgpr_count:     32
    .sgpr_spill_count: 0
    .symbol:         _ZN4vllm36dynamic_scaled_int8_azp_quant_kernelIffiEEvPKT_PaPT0_PT1_i.kd
    .uniform_work_group_size: 1
    .uses_dynamic_stack: false
    .vgpr_count:     27
    .vgpr_spill_count: 0
    .wavefront_size: 64
  - .args:
      - .address_space:  global
        .offset:         0
        .size:           8
        .value_kind:     global_buffer
      - .actual_access:  write_only
        .address_space:  global
        .offset:         8
        .size:           8
        .value_kind:     global_buffer
      - .address_space:  global
        .offset:         16
        .size:           8
        .value_kind:     global_buffer
      - .offset:         24
        .size:           4
        .value_kind:     by_value
      - .offset:         32
        .size:           4
        .value_kind:     hidden_block_count_x
      - .offset:         36
        .size:           4
        .value_kind:     hidden_block_count_y
      - .offset:         40
        .size:           4
        .value_kind:     hidden_block_count_z
      - .offset:         44
        .size:           2
        .value_kind:     hidden_group_size_x
      - .offset:         46
        .size:           2
        .value_kind:     hidden_group_size_y
      - .offset:         48
        .size:           2
        .value_kind:     hidden_group_size_z
      - .offset:         50
        .size:           2
        .value_kind:     hidden_remainder_x
      - .offset:         52
        .size:           2
        .value_kind:     hidden_remainder_y
      - .offset:         54
        .size:           2
        .value_kind:     hidden_remainder_z
      - .offset:         72
        .size:           8
        .value_kind:     hidden_global_offset_x
      - .offset:         80
        .size:           8
        .value_kind:     hidden_global_offset_y
      - .offset:         88
        .size:           8
        .value_kind:     hidden_global_offset_z
      - .offset:         96
        .size:           2
        .value_kind:     hidden_grid_dims
    .group_segment_fixed_size: 20
    .kernarg_segment_align: 8
    .kernarg_segment_size: 288
    .language:       OpenCL C
    .language_version:
      - 2
      - 0
    .max_flat_workgroup_size: 1024
    .name:           _ZN4vllm32dynamic_scaled_int8_quant_kernelIN3c104HalfEfEEvPKT_PaPT0_i
    .private_segment_fixed_size: 0
    .sgpr_count:     63
    .sgpr_spill_count: 0
    .symbol:         _ZN4vllm32dynamic_scaled_int8_quant_kernelIN3c104HalfEfEEvPKT_PaPT0_i.kd
    .uniform_work_group_size: 1
    .uses_dynamic_stack: false
    .vgpr_count:     28
    .vgpr_spill_count: 0
    .wavefront_size: 64
  - .args:
      - .address_space:  global
        .offset:         0
        .size:           8
        .value_kind:     global_buffer
      - .actual_access:  write_only
        .address_space:  global
        .offset:         8
        .size:           8
        .value_kind:     global_buffer
      - .address_space:  global
        .offset:         16
        .size:           8
        .value_kind:     global_buffer
      - .address_space:  global
        .offset:         24
        .size:           8
        .value_kind:     global_buffer
      - .offset:         32
        .size:           4
        .value_kind:     by_value
      - .offset:         40
        .size:           4
        .value_kind:     hidden_block_count_x
      - .offset:         44
        .size:           4
        .value_kind:     hidden_block_count_y
      - .offset:         48
        .size:           4
        .value_kind:     hidden_block_count_z
      - .offset:         52
        .size:           2
        .value_kind:     hidden_group_size_x
      - .offset:         54
        .size:           2
        .value_kind:     hidden_group_size_y
      - .offset:         56
        .size:           2
        .value_kind:     hidden_group_size_z
      - .offset:         58
        .size:           2
        .value_kind:     hidden_remainder_x
      - .offset:         60
        .size:           2
        .value_kind:     hidden_remainder_y
      - .offset:         62
        .size:           2
        .value_kind:     hidden_remainder_z
      - .offset:         80
        .size:           8
        .value_kind:     hidden_global_offset_x
      - .offset:         88
        .size:           8
        .value_kind:     hidden_global_offset_y
      - .offset:         96
        .size:           8
        .value_kind:     hidden_global_offset_z
      - .offset:         104
        .size:           2
        .value_kind:     hidden_grid_dims
    .group_segment_fixed_size: 40
    .kernarg_segment_align: 8
    .kernarg_segment_size: 296
    .language:       OpenCL C
    .language_version:
      - 2
      - 0
    .max_flat_workgroup_size: 1024
    .name:           _ZN4vllm36dynamic_scaled_int8_azp_quant_kernelIN3c104HalfEfiEEvPKT_PaPT0_PT1_i
    .private_segment_fixed_size: 0
    .sgpr_count:     100
    .sgpr_spill_count: 1
    .symbol:         _ZN4vllm36dynamic_scaled_int8_azp_quant_kernelIN3c104HalfEfiEEvPKT_PaPT0_PT1_i.kd
    .uniform_work_group_size: 1
    .uses_dynamic_stack: false
    .vgpr_count:     62
    .vgpr_spill_count: 0
    .wavefront_size: 64
  - .args:
      - .address_space:  global
        .offset:         0
        .size:           8
        .value_kind:     global_buffer
      - .actual_access:  write_only
        .address_space:  global
        .offset:         8
        .size:           8
        .value_kind:     global_buffer
      - .address_space:  global
        .offset:         16
        .size:           8
        .value_kind:     global_buffer
      - .offset:         24
        .size:           4
        .value_kind:     by_value
      - .offset:         32
        .size:           4
        .value_kind:     hidden_block_count_x
      - .offset:         36
        .size:           4
        .value_kind:     hidden_block_count_y
      - .offset:         40
        .size:           4
        .value_kind:     hidden_block_count_z
      - .offset:         44
        .size:           2
        .value_kind:     hidden_group_size_x
      - .offset:         46
        .size:           2
        .value_kind:     hidden_group_size_y
      - .offset:         48
        .size:           2
        .value_kind:     hidden_group_size_z
      - .offset:         50
        .size:           2
        .value_kind:     hidden_remainder_x
      - .offset:         52
        .size:           2
        .value_kind:     hidden_remainder_y
      - .offset:         54
        .size:           2
        .value_kind:     hidden_remainder_z
      - .offset:         72
        .size:           8
        .value_kind:     hidden_global_offset_x
      - .offset:         80
        .size:           8
        .value_kind:     hidden_global_offset_y
      - .offset:         88
        .size:           8
        .value_kind:     hidden_global_offset_z
      - .offset:         96
        .size:           2
        .value_kind:     hidden_grid_dims
    .group_segment_fixed_size: 20
    .kernarg_segment_align: 8
    .kernarg_segment_size: 288
    .language:       OpenCL C
    .language_version:
      - 2
      - 0
    .max_flat_workgroup_size: 1024
    .name:           _ZN4vllm32dynamic_scaled_int8_quant_kernelIN3c108BFloat16EfEEvPKT_PaPT0_i
    .private_segment_fixed_size: 0
    .sgpr_count:     63
    .sgpr_spill_count: 0
    .symbol:         _ZN4vllm32dynamic_scaled_int8_quant_kernelIN3c108BFloat16EfEEvPKT_PaPT0_i.kd
    .uniform_work_group_size: 1
    .uses_dynamic_stack: false
    .vgpr_count:     28
    .vgpr_spill_count: 0
    .wavefront_size: 64
  - .args:
      - .address_space:  global
        .offset:         0
        .size:           8
        .value_kind:     global_buffer
      - .actual_access:  write_only
        .address_space:  global
        .offset:         8
        .size:           8
        .value_kind:     global_buffer
      - .address_space:  global
        .offset:         16
        .size:           8
        .value_kind:     global_buffer
      - .address_space:  global
        .offset:         24
        .size:           8
        .value_kind:     global_buffer
      - .offset:         32
        .size:           4
        .value_kind:     by_value
      - .offset:         40
        .size:           4
        .value_kind:     hidden_block_count_x
      - .offset:         44
        .size:           4
        .value_kind:     hidden_block_count_y
      - .offset:         48
        .size:           4
        .value_kind:     hidden_block_count_z
      - .offset:         52
        .size:           2
        .value_kind:     hidden_group_size_x
      - .offset:         54
        .size:           2
        .value_kind:     hidden_group_size_y
      - .offset:         56
        .size:           2
        .value_kind:     hidden_group_size_z
      - .offset:         58
        .size:           2
        .value_kind:     hidden_remainder_x
      - .offset:         60
        .size:           2
        .value_kind:     hidden_remainder_y
      - .offset:         62
        .size:           2
        .value_kind:     hidden_remainder_z
      - .offset:         80
        .size:           8
        .value_kind:     hidden_global_offset_x
      - .offset:         88
        .size:           8
        .value_kind:     hidden_global_offset_y
      - .offset:         96
        .size:           8
        .value_kind:     hidden_global_offset_z
      - .offset:         104
        .size:           2
        .value_kind:     hidden_grid_dims
    .group_segment_fixed_size: 40
    .kernarg_segment_align: 8
    .kernarg_segment_size: 296
    .language:       OpenCL C
    .language_version:
      - 2
      - 0
    .max_flat_workgroup_size: 1024
    .name:           _ZN4vllm36dynamic_scaled_int8_azp_quant_kernelIN3c108BFloat16EfiEEvPKT_PaPT0_PT1_i
    .private_segment_fixed_size: 0
    .sgpr_count:     100
    .sgpr_spill_count: 1
    .symbol:         _ZN4vllm36dynamic_scaled_int8_azp_quant_kernelIN3c108BFloat16EfiEEvPKT_PaPT0_PT1_i.kd
    .uniform_work_group_size: 1
    .uses_dynamic_stack: false
    .vgpr_count:     62
    .vgpr_spill_count: 0
    .wavefront_size: 64
amdhsa.target:   amdgcn-amd-amdhsa--gfx906
amdhsa.version:
  - 1
  - 2
...

	.end_amdgpu_metadata
